;; amdgpu-corpus repo=ROCm/rocFFT kind=compiled arch=gfx950 opt=O3
	.text
	.amdgcn_target "amdgcn-amd-amdhsa--gfx950"
	.amdhsa_code_object_version 6
	.protected	fft_rtc_back_len1326_factors_17_6_13_wgs_204_tpt_102_halfLds_dp_ip_CI_unitstride_sbrr_C2R_dirReg ; -- Begin function fft_rtc_back_len1326_factors_17_6_13_wgs_204_tpt_102_halfLds_dp_ip_CI_unitstride_sbrr_C2R_dirReg
	.globl	fft_rtc_back_len1326_factors_17_6_13_wgs_204_tpt_102_halfLds_dp_ip_CI_unitstride_sbrr_C2R_dirReg
	.p2align	8
	.type	fft_rtc_back_len1326_factors_17_6_13_wgs_204_tpt_102_halfLds_dp_ip_CI_unitstride_sbrr_C2R_dirReg,@function
fft_rtc_back_len1326_factors_17_6_13_wgs_204_tpt_102_halfLds_dp_ip_CI_unitstride_sbrr_C2R_dirReg: ; @fft_rtc_back_len1326_factors_17_6_13_wgs_204_tpt_102_halfLds_dp_ip_CI_unitstride_sbrr_C2R_dirReg
; %bb.0:
	s_load_dwordx2 s[8:9], s[0:1], 0x50
	s_load_dwordx4 s[4:7], s[0:1], 0x0
	s_load_dwordx2 s[10:11], s[0:1], 0x18
	v_mul_u32_u24_e32 v1, 0x283, v0
	v_lshrrev_b32_e32 v1, 16, v1
	v_lshl_add_u32 v6, s2, 1, v1
	v_mov_b32_e32 v4, 0
	s_waitcnt lgkmcnt(0)
	v_cmp_lt_u64_e64 s[2:3], s[6:7], 2
	v_mov_b32_e32 v7, v4
	s_and_b64 vcc, exec, s[2:3]
	v_mov_b64_e32 v[2:3], 0
	s_cbranch_vccnz .LBB0_8
; %bb.1:
	s_load_dwordx2 s[2:3], s[0:1], 0x10
	s_add_u32 s12, s10, 8
	s_addc_u32 s13, s11, 0
	s_mov_b64 s[14:15], 1
	v_mov_b64_e32 v[2:3], 0
	s_waitcnt lgkmcnt(0)
	s_add_u32 s16, s2, 8
	s_addc_u32 s17, s3, 0
.LBB0_2:                                ; =>This Inner Loop Header: Depth=1
	s_load_dwordx2 s[18:19], s[16:17], 0x0
                                        ; implicit-def: $vgpr8_vgpr9
	s_waitcnt lgkmcnt(0)
	v_or_b32_e32 v5, s19, v7
	v_cmp_ne_u64_e32 vcc, 0, v[4:5]
	s_and_saveexec_b64 s[2:3], vcc
	s_xor_b64 s[20:21], exec, s[2:3]
	s_cbranch_execz .LBB0_4
; %bb.3:                                ;   in Loop: Header=BB0_2 Depth=1
	v_cvt_f32_u32_e32 v5, s18
	v_cvt_f32_u32_e32 v8, s19
	s_sub_u32 s2, 0, s18
	s_subb_u32 s3, 0, s19
	v_fmac_f32_e32 v5, 0x4f800000, v8
	v_rcp_f32_e32 v5, v5
	s_nop 0
	v_mul_f32_e32 v5, 0x5f7ffffc, v5
	v_mul_f32_e32 v8, 0x2f800000, v5
	v_trunc_f32_e32 v8, v8
	v_fmac_f32_e32 v5, 0xcf800000, v8
	v_cvt_u32_f32_e32 v12, v8
	v_cvt_u32_f32_e32 v5, v5
	v_mul_lo_u32 v8, s2, v12
	v_mul_hi_u32 v10, s2, v5
	v_mul_lo_u32 v9, s3, v5
	v_add_u32_e32 v10, v10, v8
	v_mul_lo_u32 v13, s2, v5
	v_add_u32_e32 v14, v10, v9
	v_mul_hi_u32 v8, v5, v13
	v_mul_hi_u32 v11, v5, v14
	v_mul_lo_u32 v10, v5, v14
	v_mov_b32_e32 v9, v4
	v_lshl_add_u64 v[8:9], v[8:9], 0, v[10:11]
	v_mul_hi_u32 v11, v12, v13
	v_mul_lo_u32 v13, v12, v13
	v_add_co_u32_e32 v8, vcc, v8, v13
	v_mul_hi_u32 v10, v12, v14
	s_nop 0
	v_addc_co_u32_e32 v8, vcc, v9, v11, vcc
	v_mov_b32_e32 v9, v4
	s_nop 0
	v_addc_co_u32_e32 v11, vcc, 0, v10, vcc
	v_mul_lo_u32 v10, v12, v14
	v_lshl_add_u64 v[8:9], v[8:9], 0, v[10:11]
	v_add_co_u32_e32 v5, vcc, v5, v8
	v_mul_lo_u32 v10, s2, v5
	s_nop 0
	v_addc_co_u32_e32 v12, vcc, v12, v9, vcc
	v_mul_lo_u32 v8, s2, v12
	v_mul_hi_u32 v9, s2, v5
	v_add_u32_e32 v8, v9, v8
	v_mul_lo_u32 v9, s3, v5
	v_add_u32_e32 v13, v8, v9
	v_mul_hi_u32 v15, v12, v10
	v_mul_lo_u32 v16, v12, v10
	v_mul_hi_u32 v9, v5, v13
	v_mul_lo_u32 v8, v5, v13
	v_mul_hi_u32 v10, v5, v10
	v_mov_b32_e32 v11, v4
	v_lshl_add_u64 v[8:9], v[10:11], 0, v[8:9]
	v_add_co_u32_e32 v8, vcc, v8, v16
	v_mul_hi_u32 v14, v12, v13
	s_nop 0
	v_addc_co_u32_e32 v8, vcc, v9, v15, vcc
	v_mul_lo_u32 v10, v12, v13
	s_nop 0
	v_addc_co_u32_e32 v11, vcc, 0, v14, vcc
	v_mov_b32_e32 v9, v4
	v_lshl_add_u64 v[8:9], v[8:9], 0, v[10:11]
	v_add_co_u32_e32 v5, vcc, v5, v8
	v_mul_hi_u32 v10, v6, v5
	s_nop 0
	v_addc_co_u32_e32 v12, vcc, v12, v9, vcc
	v_mad_u64_u32 v[8:9], s[2:3], v6, v12, 0
	v_mov_b32_e32 v11, v4
	v_lshl_add_u64 v[8:9], v[10:11], 0, v[8:9]
	v_mad_u64_u32 v[10:11], s[2:3], v7, v12, 0
	v_mad_u64_u32 v[12:13], s[2:3], v7, v5, 0
	v_add_co_u32_e32 v5, vcc, v8, v12
	s_nop 1
	v_addc_co_u32_e32 v8, vcc, v9, v13, vcc
	v_mov_b32_e32 v9, v4
	s_nop 0
	v_addc_co_u32_e32 v11, vcc, 0, v11, vcc
	v_lshl_add_u64 v[8:9], v[8:9], 0, v[10:11]
	v_mul_lo_u32 v5, s19, v8
	v_mul_lo_u32 v12, s18, v9
	v_mad_u64_u32 v[10:11], s[2:3], s18, v8, 0
	v_add3_u32 v5, v11, v12, v5
	v_sub_u32_e32 v11, v7, v5
	v_mov_b32_e32 v12, s19
	v_sub_co_u32_e32 v14, vcc, v6, v10
	s_nop 1
	v_subb_co_u32_e64 v10, s[2:3], v11, v12, vcc
	v_subrev_co_u32_e64 v11, s[2:3], s18, v14
	v_subb_co_u32_e32 v5, vcc, v7, v5, vcc
	s_nop 0
	v_subbrev_co_u32_e64 v10, s[2:3], 0, v10, s[2:3]
	v_cmp_le_u32_e64 s[2:3], s19, v10
	v_cmp_le_u32_e32 vcc, s19, v5
	s_nop 0
	v_cndmask_b32_e64 v12, 0, -1, s[2:3]
	v_cmp_le_u32_e64 s[2:3], s18, v11
	s_nop 1
	v_cndmask_b32_e64 v11, 0, -1, s[2:3]
	v_cmp_eq_u32_e64 s[2:3], s19, v10
	s_nop 1
	v_cndmask_b32_e64 v15, v12, v11, s[2:3]
	v_lshl_add_u64 v[10:11], v[8:9], 0, 2
	v_lshl_add_u64 v[12:13], v[8:9], 0, 1
	v_cmp_ne_u32_e64 s[2:3], 0, v15
	s_nop 1
	v_cndmask_b32_e64 v11, v13, v11, s[2:3]
	v_cndmask_b32_e64 v13, 0, -1, vcc
	v_cmp_le_u32_e32 vcc, s18, v14
	s_nop 1
	v_cndmask_b32_e64 v14, 0, -1, vcc
	v_cmp_eq_u32_e32 vcc, s19, v5
	s_nop 1
	v_cndmask_b32_e32 v5, v13, v14, vcc
	v_cmp_ne_u32_e32 vcc, 0, v5
	v_cndmask_b32_e64 v5, v12, v10, s[2:3]
	s_nop 0
	v_cndmask_b32_e32 v9, v9, v11, vcc
	v_cndmask_b32_e32 v8, v8, v5, vcc
.LBB0_4:                                ;   in Loop: Header=BB0_2 Depth=1
	s_andn2_saveexec_b64 s[2:3], s[20:21]
	s_cbranch_execz .LBB0_6
; %bb.5:                                ;   in Loop: Header=BB0_2 Depth=1
	v_cvt_f32_u32_e32 v5, s18
	s_sub_i32 s20, 0, s18
	v_rcp_iflag_f32_e32 v5, v5
	s_nop 0
	v_mul_f32_e32 v5, 0x4f7ffffe, v5
	v_cvt_u32_f32_e32 v5, v5
	v_mul_lo_u32 v8, s20, v5
	v_mul_hi_u32 v8, v5, v8
	v_add_u32_e32 v5, v5, v8
	v_mul_hi_u32 v5, v6, v5
	v_mul_lo_u32 v8, v5, s18
	v_sub_u32_e32 v8, v6, v8
	v_add_u32_e32 v9, 1, v5
	v_subrev_u32_e32 v10, s18, v8
	v_cmp_le_u32_e32 vcc, s18, v8
	s_nop 1
	v_cndmask_b32_e32 v8, v8, v10, vcc
	v_cndmask_b32_e32 v5, v5, v9, vcc
	v_add_u32_e32 v9, 1, v5
	v_cmp_le_u32_e32 vcc, s18, v8
	s_nop 1
	v_cndmask_b32_e32 v8, v5, v9, vcc
	v_mov_b32_e32 v9, v4
.LBB0_6:                                ;   in Loop: Header=BB0_2 Depth=1
	s_or_b64 exec, exec, s[2:3]
	v_mad_u64_u32 v[10:11], s[2:3], v8, s18, 0
	s_load_dwordx2 s[2:3], s[12:13], 0x0
	v_mul_lo_u32 v5, v9, s18
	v_mul_lo_u32 v12, v8, s19
	v_add3_u32 v5, v11, v12, v5
	v_sub_co_u32_e32 v6, vcc, v6, v10
	s_add_u32 s14, s14, 1
	s_nop 0
	v_subb_co_u32_e32 v5, vcc, v7, v5, vcc
	s_addc_u32 s15, s15, 0
	s_waitcnt lgkmcnt(0)
	v_mul_lo_u32 v5, s2, v5
	v_mul_lo_u32 v7, s3, v6
	v_mad_u64_u32 v[2:3], s[2:3], s2, v6, v[2:3]
	s_add_u32 s12, s12, 8
	v_add3_u32 v3, v7, v3, v5
	s_addc_u32 s13, s13, 0
	v_mov_b64_e32 v[6:7], s[6:7]
	s_add_u32 s16, s16, 8
	v_cmp_ge_u64_e32 vcc, s[14:15], v[6:7]
	s_addc_u32 s17, s17, 0
	s_cbranch_vccnz .LBB0_9
; %bb.7:                                ;   in Loop: Header=BB0_2 Depth=1
	v_mov_b64_e32 v[6:7], v[8:9]
	s_branch .LBB0_2
.LBB0_8:
	v_mov_b64_e32 v[8:9], v[6:7]
.LBB0_9:
	s_lshl_b64 s[2:3], s[6:7], 3
	s_add_u32 s2, s10, s2
	s_addc_u32 s3, s11, s3
	s_load_dwordx2 s[6:7], s[2:3], 0x0
	s_load_dwordx2 s[10:11], s[0:1], 0x20
	v_and_b32_e32 v1, 1, v1
	v_cmp_eq_u32_e32 vcc, 1, v1
	s_mov_b32 s2, 0x2828283
	s_waitcnt lgkmcnt(0)
	v_mul_lo_u32 v4, s6, v9
	v_mul_lo_u32 v5, s7, v8
	v_mad_u64_u32 v[2:3], s[0:1], s6, v8, v[2:3]
	v_add3_u32 v3, v5, v3, v4
	v_mov_b32_e32 v4, 0x52f
	v_cndmask_b32_e32 v1, 0, v4, vcc
	v_mul_hi_u32 v4, v0, s2
	v_mul_u32_u24_e32 v4, 0x66, v4
	v_cmp_gt_u64_e64 s[0:1], s[10:11], v[8:9]
	v_sub_u32_e32 v122, v0, v4
	v_lshl_add_u64 v[120:121], v[2:3], 4, s[8:9]
	v_lshlrev_b32_e32 v229, 4, v1
	s_and_saveexec_b64 s[2:3], s[0:1]
	s_cbranch_execz .LBB0_13
; %bb.10:
	v_mov_b32_e32 v123, 0
	v_lshl_add_u64 v[42:43], v[122:123], 4, v[120:121]
	v_add_co_u32_e32 v26, vcc, 0x1000, v42
	global_load_dwordx4 v[2:5], v[42:43], off
	global_load_dwordx4 v[6:9], v[42:43], off offset:1632
	v_addc_co_u32_e32 v27, vcc, 0, v43, vcc
	v_add_co_u32_e32 v34, vcc, 0x2000, v42
	global_load_dwordx4 v[10:13], v[42:43], off offset:3264
	global_load_dwordx4 v[14:17], v[26:27], off offset:800
	;; [unrolled: 1-line block ×4, first 2 shown]
	v_addc_co_u32_e32 v35, vcc, 0, v43, vcc
	v_add_co_u32_e32 v54, vcc, 0x3000, v42
	global_load_dwordx4 v[26:29], v[34:35], off offset:1600
	global_load_dwordx4 v[30:33], v[34:35], off offset:3232
	v_addc_co_u32_e32 v55, vcc, 0, v43, vcc
	v_add_co_u32_e32 v56, vcc, 0x4000, v42
	global_load_dwordx4 v[34:37], v[54:55], off offset:768
	global_load_dwordx4 v[38:41], v[54:55], off offset:2400
	v_addc_co_u32_e32 v57, vcc, 0, v43, vcc
	global_load_dwordx4 v[42:45], v[54:55], off offset:4032
	global_load_dwordx4 v[46:49], v[56:57], off offset:1568
	;; [unrolled: 1-line block ×3, first 2 shown]
	v_lshlrev_b32_e32 v0, 4, v122
	s_movk_i32 s6, 0x65
	v_add3_u32 v0, 0, v229, v0
	v_cmp_eq_u32_e32 vcc, s6, v122
	s_waitcnt vmcnt(12)
	ds_write_b128 v0, v[2:5]
	s_waitcnt vmcnt(11)
	ds_write_b128 v0, v[6:9] offset:1632
	s_waitcnt vmcnt(10)
	ds_write_b128 v0, v[10:13] offset:3264
	;; [unrolled: 2-line block ×12, first 2 shown]
	s_and_saveexec_b64 s[6:7], vcc
	s_cbranch_execz .LBB0_12
; %bb.11:
	v_add_co_u32_e32 v2, vcc, 0x5000, v120
	v_mov_b32_e32 v122, 0x65
	s_nop 0
	v_addc_co_u32_e32 v3, vcc, 0, v121, vcc
	global_load_dwordx4 v[2:5], v[2:3], off offset:736
	s_waitcnt vmcnt(0)
	ds_write_b128 v0, v[2:5] offset:19600
.LBB0_12:
	s_or_b64 exec, exec, s[6:7]
.LBB0_13:
	s_or_b64 exec, exec, s[2:3]
	v_lshl_add_u32 v230, v1, 4, 0
	v_lshlrev_b32_e32 v10, 4, v122
	v_add_u32_e32 v228, v230, v10
	s_waitcnt lgkmcnt(0)
	s_barrier
	v_sub_u32_e32 v11, v230, v10
	ds_read_b64 v[6:7], v228
	ds_read_b64 v[8:9], v11 offset:21216
	s_add_u32 s2, s4, 0x51d0
	s_addc_u32 s3, s5, 0
	v_cmp_ne_u32_e32 vcc, 0, v122
                                        ; implicit-def: $vgpr4_vgpr5
	s_waitcnt lgkmcnt(0)
	v_add_f64 v[0:1], v[6:7], v[8:9]
	v_add_f64 v[2:3], v[6:7], -v[8:9]
	s_and_saveexec_b64 s[6:7], vcc
	s_xor_b64 s[6:7], exec, s[6:7]
	s_cbranch_execz .LBB0_15
; %bb.14:
	v_mov_b32_e32 v123, 0
	v_lshl_add_u64 v[0:1], v[122:123], 4, s[2:3]
	global_load_dwordx4 v[12:15], v[0:1], off
	ds_read_b64 v[0:1], v11 offset:21224
	ds_read_b64 v[2:3], v228 offset:8
	v_add_f64 v[4:5], v[6:7], v[8:9]
	v_add_f64 v[8:9], v[6:7], -v[8:9]
	s_waitcnt lgkmcnt(0)
	v_add_f64 v[16:17], v[0:1], v[2:3]
	v_add_f64 v[0:1], v[2:3], -v[0:1]
	s_waitcnt vmcnt(0)
	v_fma_f64 v[18:19], v[8:9], v[14:15], v[4:5]
	v_fma_f64 v[4:5], -v[8:9], v[14:15], v[4:5]
	v_fma_f64 v[6:7], v[16:17], v[14:15], -v[0:1]
	v_fma_f64 v[2:3], v[16:17], v[14:15], v[0:1]
	v_fmac_f64_e32 v[4:5], v[16:17], v[12:13]
	v_fmac_f64_e32 v[6:7], v[8:9], v[12:13]
	v_fma_f64 v[0:1], -v[16:17], v[12:13], v[18:19]
	v_fmac_f64_e32 v[2:3], v[8:9], v[12:13]
	ds_write_b128 v11, v[4:7] offset:21216
	v_mov_b64_e32 v[4:5], v[122:123]
.LBB0_15:
	s_andn2_saveexec_b64 s[6:7], s[6:7]
	s_cbranch_execz .LBB0_17
; %bb.16:
	ds_read_b128 v[4:7], v230 offset:10608
	s_waitcnt lgkmcnt(0)
	v_add_f64 v[4:5], v[4:5], v[4:5]
	v_mul_f64 v[6:7], v[6:7], -2.0
	ds_write_b128 v230, v[4:7] offset:10608
	v_mov_b64_e32 v[4:5], 0
.LBB0_17:
	s_or_b64 exec, exec, s[6:7]
	v_lshl_add_u64 v[8:9], v[4:5], 4, s[2:3]
	global_load_dwordx4 v[4:7], v[8:9], off offset:1632
	global_load_dwordx4 v[12:15], v[8:9], off offset:3264
	s_movk_i32 s2, 0x1000
	v_add_co_u32_e32 v28, vcc, s2, v8
	s_nop 1
	v_addc_co_u32_e32 v29, vcc, 0, v9, vcc
	global_load_dwordx4 v[16:19], v[28:29], off offset:800
	global_load_dwordx4 v[20:23], v[28:29], off offset:2432
	ds_write_b128 v228, v[0:3]
	ds_read_b128 v[0:3], v228 offset:1632
	ds_read_b128 v[24:27], v11 offset:19584
	global_load_dwordx4 v[28:31], v[28:29], off offset:4064
	v_cmp_gt_u32_e32 vcc, 51, v122
	s_waitcnt lgkmcnt(0)
	v_add_f64 v[32:33], v[0:1], v[24:25]
	v_add_f64 v[34:35], v[26:27], v[2:3]
	v_add_f64 v[36:37], v[0:1], -v[24:25]
	v_add_f64 v[0:1], v[2:3], -v[26:27]
	s_waitcnt vmcnt(4)
	v_fma_f64 v[38:39], v[36:37], v[6:7], v[32:33]
	v_fma_f64 v[2:3], v[34:35], v[6:7], v[0:1]
	v_fma_f64 v[24:25], -v[36:37], v[6:7], v[32:33]
	v_fma_f64 v[26:27], v[34:35], v[6:7], -v[0:1]
	v_fma_f64 v[0:1], -v[34:35], v[4:5], v[38:39]
	v_fmac_f64_e32 v[2:3], v[36:37], v[4:5]
	v_fmac_f64_e32 v[24:25], v[34:35], v[4:5]
	v_fmac_f64_e32 v[26:27], v[36:37], v[4:5]
	ds_write_b128 v228, v[0:3] offset:1632
	ds_write_b128 v11, v[24:27] offset:19584
	ds_read_b128 v[0:3], v228 offset:3264
	ds_read_b128 v[4:7], v11 offset:17952
	s_waitcnt lgkmcnt(0)
	v_add_f64 v[24:25], v[0:1], v[4:5]
	v_add_f64 v[26:27], v[6:7], v[2:3]
	v_add_f64 v[32:33], v[0:1], -v[4:5]
	v_add_f64 v[0:1], v[2:3], -v[6:7]
	s_waitcnt vmcnt(3)
	v_fma_f64 v[34:35], v[32:33], v[14:15], v[24:25]
	v_fma_f64 v[2:3], v[26:27], v[14:15], v[0:1]
	v_fma_f64 v[4:5], -v[32:33], v[14:15], v[24:25]
	v_fma_f64 v[6:7], v[26:27], v[14:15], -v[0:1]
	v_fma_f64 v[0:1], -v[26:27], v[12:13], v[34:35]
	v_fmac_f64_e32 v[2:3], v[32:33], v[12:13]
	v_fmac_f64_e32 v[4:5], v[26:27], v[12:13]
	v_fmac_f64_e32 v[6:7], v[32:33], v[12:13]
	ds_write_b128 v228, v[0:3] offset:3264
	ds_write_b128 v11, v[4:7] offset:17952
	ds_read_b128 v[0:3], v228 offset:4896
	ds_read_b128 v[4:7], v11 offset:16320
	;; [unrolled: 18-line block ×4, first 2 shown]
	s_waitcnt lgkmcnt(0)
	v_add_f64 v[12:13], v[0:1], v[4:5]
	v_add_f64 v[14:15], v[6:7], v[2:3]
	v_add_f64 v[16:17], v[0:1], -v[4:5]
	v_add_f64 v[0:1], v[2:3], -v[6:7]
	s_waitcnt vmcnt(0)
	v_fma_f64 v[18:19], v[16:17], v[30:31], v[12:13]
	v_fma_f64 v[2:3], v[14:15], v[30:31], v[0:1]
	v_fma_f64 v[4:5], -v[16:17], v[30:31], v[12:13]
	v_fma_f64 v[6:7], v[14:15], v[30:31], -v[0:1]
	v_fma_f64 v[0:1], -v[14:15], v[28:29], v[18:19]
	v_fmac_f64_e32 v[2:3], v[16:17], v[28:29]
	v_fmac_f64_e32 v[4:5], v[14:15], v[28:29]
	;; [unrolled: 1-line block ×3, first 2 shown]
	ds_write_b128 v228, v[0:3] offset:8160
	ds_write_b128 v11, v[4:7] offset:13056
	s_and_saveexec_b64 s[2:3], vcc
	s_cbranch_execz .LBB0_19
; %bb.18:
	s_movk_i32 s6, 0x2000
	v_add_co_u32_e32 v0, vcc, s6, v8
	s_nop 1
	v_addc_co_u32_e32 v1, vcc, 0, v9, vcc
	global_load_dwordx4 v[0:3], v[0:1], off offset:1600
	ds_read_b128 v[4:7], v228 offset:9792
	ds_read_b128 v[12:15], v11 offset:11424
	s_waitcnt lgkmcnt(0)
	v_add_f64 v[8:9], v[4:5], v[12:13]
	v_add_f64 v[16:17], v[14:15], v[6:7]
	v_add_f64 v[12:13], v[4:5], -v[12:13]
	v_add_f64 v[14:15], v[6:7], -v[14:15]
	s_waitcnt vmcnt(0)
	v_fma_f64 v[18:19], v[12:13], v[2:3], v[8:9]
	v_fma_f64 v[4:5], v[16:17], v[2:3], v[14:15]
	v_fma_f64 v[6:7], -v[12:13], v[2:3], v[8:9]
	v_fma_f64 v[8:9], v[16:17], v[2:3], -v[14:15]
	v_fma_f64 v[2:3], -v[16:17], v[0:1], v[18:19]
	v_fmac_f64_e32 v[4:5], v[12:13], v[0:1]
	v_fmac_f64_e32 v[6:7], v[16:17], v[0:1]
	;; [unrolled: 1-line block ×3, first 2 shown]
	ds_write_b128 v228, v[2:5] offset:9792
	ds_write_b128 v11, v[6:9] offset:11424
.LBB0_19:
	s_or_b64 exec, exec, s[2:3]
	v_add3_u32 v123, 0, v10, v229
	s_waitcnt lgkmcnt(0)
	s_barrier
	s_barrier
	ds_read_b128 v[20:23], v123 offset:19968
	ds_read_b128 v[24:27], v123 offset:1248
	ds_read_b128 v[28:31], v228
	ds_read_b128 v[32:35], v123 offset:2496
	ds_read_b128 v[36:39], v123 offset:3744
	;; [unrolled: 1-line block ×4, first 2 shown]
	s_mov_b32 s12, 0x5d8e7cdc
	s_waitcnt lgkmcnt(5)
	v_add_f64 v[104:105], v[26:27], -v[22:23]
	s_mov_b32 s2, 0x370991
	s_mov_b32 s13, 0xbfd71e95
	;; [unrolled: 1-line block ×3, first 2 shown]
	v_add_f64 v[134:135], v[24:25], v[20:21]
	v_add_f64 v[108:109], v[26:27], v[22:23]
	s_mov_b32 s3, 0x3fedd6d0
	v_mul_f64 v[98:99], v[104:105], s[12:13]
	s_mov_b32 s8, 0x75d4884
	s_mov_b32 s15, 0xbfe58eea
	s_waitcnt lgkmcnt(1)
	v_add_f64 v[106:107], v[34:35], -v[42:43]
	ds_read_b128 v[48:51], v123 offset:16224
	ds_read_b128 v[52:55], v123 offset:4992
	v_add_f64 v[136:137], v[24:25], -v[20:21]
	v_mul_f64 v[100:101], v[108:109], s[2:3]
	v_fma_f64 v[0:1], v[134:135], s[2:3], -v[98:99]
	s_mov_b32 s9, 0x3fe7a5f6
	s_mov_b32 s10, 0x7c9e640b
	v_add_f64 v[142:143], v[32:33], v[40:41]
	v_add_f64 v[110:111], v[34:35], v[42:43]
	v_mul_f64 v[102:103], v[106:107], s[14:15]
	v_add_f64 v[0:1], v[28:29], v[0:1]
	v_fma_f64 v[2:3], s[12:13], v[136:137], v[100:101]
	s_mov_b32 s6, 0x2b2883cd
	s_mov_b32 s11, 0xbfeca52d
	v_add_f64 v[144:145], v[32:33], -v[40:41]
	v_mul_f64 v[124:125], v[110:111], s[8:9]
	v_fma_f64 v[4:5], v[142:143], s[8:9], -v[102:103]
	s_waitcnt lgkmcnt(2)
	v_add_f64 v[114:115], v[38:39], -v[46:47]
	v_add_f64 v[2:3], v[30:31], v[2:3]
	s_mov_b32 s7, 0x3fdc86fa
	v_add_f64 v[0:1], v[4:5], v[0:1]
	v_fma_f64 v[4:5], s[14:15], v[144:145], v[124:125]
	v_add_f64 v[150:151], v[36:37], v[44:45]
	v_mul_f64 v[128:129], v[114:115], s[10:11]
	v_add_f64 v[112:113], v[38:39], v[46:47]
	ds_read_b128 v[56:59], v123 offset:6240
	ds_read_b128 v[60:63], v123 offset:14976
	v_add_f64 v[2:3], v[4:5], v[2:3]
	v_fma_f64 v[4:5], v[150:151], s[6:7], -v[128:129]
	v_add_f64 v[154:155], v[36:37], -v[44:45]
	v_mul_f64 v[132:133], v[112:113], s[6:7]
	s_mov_b32 s18, 0xeb564b22
	v_add_f64 v[0:1], v[4:5], v[0:1]
	v_fma_f64 v[4:5], s[10:11], v[154:155], v[132:133]
	s_mov_b32 s19, 0xbfefdd0d
	s_waitcnt lgkmcnt(2)
	v_add_f64 v[118:119], v[54:55], -v[50:51]
	ds_read_b128 v[64:67], v123 offset:13728
	ds_read_b128 v[68:71], v123 offset:7488
	v_add_f64 v[2:3], v[4:5], v[2:3]
	s_mov_b32 s16, 0x3259b75e
	v_mul_f64 v[4:5], v[118:119], s[18:19]
	s_mov_b32 s17, 0x3fb79ee6
	v_add_f64 v[156:157], v[52:53], v[48:49]
	v_accvgpr_write_b32 a61, v5
	v_add_f64 v[116:117], v[54:55], v[50:51]
	s_mov_b32 s22, 0x923c349f
	ds_read_b128 v[72:75], v123 offset:8736
	ds_read_b128 v[76:79], v123 offset:12480
	v_accvgpr_write_b32 a60, v4
	v_fma_f64 v[4:5], v[156:157], s[16:17], -v[4:5]
	v_add_f64 v[160:161], v[52:53], -v[48:49]
	v_mul_f64 v[232:233], v[116:117], s[16:17]
	s_mov_b32 s20, 0xc61f0d01
	s_mov_b32 s23, 0xbfeec746
	s_waitcnt lgkmcnt(4)
	v_add_f64 v[224:225], v[58:59], -v[62:63]
	v_add_f64 v[0:1], v[4:5], v[0:1]
	v_fma_f64 v[4:5], s[18:19], v[160:161], v[232:233]
	s_mov_b32 s21, 0xbfd183b1
	v_add_f64 v[164:165], v[56:57], v[60:61]
	v_mul_f64 v[234:235], v[224:225], s[22:23]
	v_add_f64 v[220:221], v[58:59], v[62:63]
	s_mov_b32 s26, 0x6c9a05f6
	ds_read_b128 v[80:83], v123 offset:9984
	ds_read_b128 v[84:87], v123 offset:11232
	v_add_f64 v[2:3], v[4:5], v[2:3]
	v_fma_f64 v[4:5], v[164:165], s[20:21], -v[234:235]
	v_add_f64 v[166:167], v[56:57], -v[60:61]
	v_mul_f64 v[236:237], v[220:221], s[20:21]
	s_mov_b32 s24, 0x6ed5f1bb
	s_mov_b32 s27, 0xbfe9895b
	s_waitcnt lgkmcnt(4)
	v_add_f64 v[250:251], v[70:71], -v[66:67]
	v_add_f64 v[0:1], v[4:5], v[0:1]
	v_fma_f64 v[4:5], s[22:23], v[166:167], v[236:237]
	s_mov_b32 s25, 0xbfe348c8
	v_add_f64 v[174:175], v[68:69], v[64:65]
	v_mul_f64 v[238:239], v[250:251], s[26:27]
	v_add_f64 v[246:247], v[70:71], v[66:67]
	s_mov_b32 s34, 0x4363dd80
	v_add_f64 v[2:3], v[4:5], v[2:3]
	v_fma_f64 v[4:5], v[174:175], s[24:25], -v[238:239]
	v_add_f64 v[176:177], v[68:69], -v[64:65]
	v_mul_f64 v[240:241], v[246:247], s[24:25]
	s_mov_b32 s30, 0x910ea3b9
	s_mov_b32 s35, 0x3fe0d888
	;; [unrolled: 1-line block ×4, first 2 shown]
	s_waitcnt lgkmcnt(2)
	v_add_f64 v[130:131], v[74:75], -v[78:79]
	v_add_f64 v[0:1], v[4:5], v[0:1]
	v_fma_f64 v[4:5], s[26:27], v[176:177], v[240:241]
	s_mov_b32 s31, 0xbfeb34fa
	v_add_f64 v[178:179], v[72:73], v[76:77]
	v_mul_f64 v[242:243], v[130:131], s[28:29]
	v_add_f64 v[126:127], v[74:75], v[78:79]
	s_mov_b32 s38, 0xacd6c6b4
	v_add_f64 v[2:3], v[4:5], v[2:3]
	v_fma_f64 v[4:5], v[178:179], s[30:31], -v[242:243]
	v_add_f64 v[180:181], v[72:73], -v[76:77]
	v_mul_f64 v[244:245], v[126:127], s[30:31]
	s_mov_b32 s36, 0x7faef3
	s_mov_b32 s39, 0xbfc7851a
	s_waitcnt lgkmcnt(0)
	v_add_f64 v[162:163], v[82:83], -v[86:87]
	v_add_f64 v[0:1], v[4:5], v[0:1]
	v_fma_f64 v[4:5], s[28:29], v[180:181], v[244:245]
	s_mov_b32 s37, 0xbfef7484
	v_add_f64 v[194:195], v[80:81], v[84:85]
	v_mul_f64 v[248:249], v[162:163], s[38:39]
	v_add_f64 v[158:159], v[82:83], v[86:87]
	v_add_f64 v[2:3], v[4:5], v[2:3]
	v_fma_f64 v[4:5], v[194:195], s[36:37], -v[248:249]
	v_add_f64 v[200:201], v[80:81], -v[84:85]
	v_mul_f64 v[252:253], v[158:159], s[36:37]
	v_add_f64 v[0:1], v[4:5], v[0:1]
	v_fma_f64 v[4:5], s[38:39], v[200:201], v[252:253]
	v_mul_f64 v[254:255], v[104:105], s[14:15]
	v_mul_f64 v[6:7], v[106:107], s[18:19]
	v_add_f64 v[2:3], v[4:5], v[2:3]
	v_fma_f64 v[4:5], v[134:135], s[8:9], -v[254:255]
	v_accvgpr_write_b32 a2, v6
	v_add_f64 v[4:5], v[28:29], v[4:5]
	v_accvgpr_write_b32 a3, v7
	v_fma_f64 v[6:7], v[142:143], s[16:17], -v[6:7]
	v_add_f64 v[4:5], v[6:7], v[4:5]
	v_mul_f64 v[6:7], v[108:109], s[8:9]
	v_accvgpr_write_b32 a9, v7
	v_mul_f64 v[8:9], v[110:111], s[16:17]
	v_accvgpr_write_b32 a8, v6
	v_fma_f64 v[6:7], s[14:15], v[136:137], v[6:7]
	v_accvgpr_write_b32 a11, v9
	v_add_f64 v[6:7], v[30:31], v[6:7]
	v_accvgpr_write_b32 a10, v8
	v_fma_f64 v[8:9], s[18:19], v[144:145], v[8:9]
	v_add_f64 v[6:7], v[8:9], v[6:7]
	v_mul_f64 v[8:9], v[114:115], s[26:27]
	v_accvgpr_write_b32 a4, v8
	v_accvgpr_write_b32 a5, v9
	v_fma_f64 v[8:9], v[150:151], s[24:25], -v[8:9]
	v_add_f64 v[4:5], v[8:9], v[4:5]
	v_mul_f64 v[8:9], v[112:113], s[24:25]
	v_accvgpr_write_b32 a15, v9
	v_accvgpr_write_b32 a14, v8
	v_fma_f64 v[8:9], s[26:27], v[154:155], v[8:9]
	v_add_f64 v[6:7], v[8:9], v[6:7]
	v_mul_f64 v[8:9], v[118:119], s[38:39]
	v_accvgpr_write_b32 a6, v8
	v_accvgpr_write_b32 a7, v9
	v_fma_f64 v[8:9], v[156:157], s[36:37], -v[8:9]
	v_add_f64 v[4:5], v[8:9], v[4:5]
	v_mul_f64 v[8:9], v[116:117], s[36:37]
	v_accvgpr_write_b32 a19, v9
	;; [unrolled: 10-line block ×3, first 2 shown]
	v_accvgpr_write_b32 a22, v8
	v_fma_f64 v[8:9], s[34:35], v[166:167], v[8:9]
	s_mov_b32 s45, 0x3feec746
	s_mov_b32 s44, s22
	v_add_f64 v[6:7], v[8:9], v[6:7]
	v_mul_f64 v[8:9], v[250:251], s[44:45]
	v_accvgpr_write_b32 a17, v9
	v_accvgpr_write_b32 a16, v8
	v_fma_f64 v[8:9], v[174:175], s[20:21], -v[8:9]
	v_add_f64 v[4:5], v[8:9], v[4:5]
	v_mul_f64 v[8:9], v[246:247], s[20:21]
	v_accvgpr_write_b32 a27, v9
	v_accvgpr_write_b32 a26, v8
	v_fma_f64 v[8:9], s[44:45], v[176:177], v[8:9]
	s_mov_b32 s43, 0x3feca52d
	s_mov_b32 s42, s10
	v_add_f64 v[6:7], v[8:9], v[6:7]
	v_mul_f64 v[8:9], v[130:131], s[42:43]
	v_accvgpr_write_b32 a21, v9
	v_accvgpr_write_b32 a20, v8
	v_fma_f64 v[8:9], v[178:179], s[6:7], -v[8:9]
	v_add_f64 v[4:5], v[8:9], v[4:5]
	v_mul_f64 v[8:9], v[126:127], s[6:7]
	v_accvgpr_write_b32 a29, v9
	;; [unrolled: 12-line block ×3, first 2 shown]
	v_accvgpr_write_b32 a30, v8
	v_fma_f64 v[8:9], s[46:47], v[200:201], v[8:9]
	v_add_f64 v[6:7], v[8:9], v[6:7]
	v_mul_f64 v[8:9], v[104:105], s[10:11]
	v_accvgpr_write_b32 a33, v9
	v_mul_f64 v[10:11], v[106:107], s[26:27]
	v_accvgpr_write_b32 a32, v8
	v_fma_f64 v[8:9], v[134:135], s[6:7], -v[8:9]
	v_accvgpr_write_b32 a35, v11
	v_add_f64 v[8:9], v[28:29], v[8:9]
	v_accvgpr_write_b32 a34, v10
	v_fma_f64 v[10:11], v[142:143], s[24:25], -v[10:11]
	v_add_f64 v[8:9], v[10:11], v[8:9]
	v_mul_f64 v[10:11], v[108:109], s[6:7]
	v_accvgpr_write_b32 a45, v11
	v_mul_f64 v[12:13], v[110:111], s[24:25]
	v_accvgpr_write_b32 a44, v10
	v_fma_f64 v[10:11], s[10:11], v[136:137], v[10:11]
	v_accvgpr_write_b32 a49, v13
	v_add_f64 v[10:11], v[30:31], v[10:11]
	v_accvgpr_write_b32 a48, v12
	v_fma_f64 v[12:13], s[26:27], v[144:145], v[12:13]
	s_mov_b32 s49, 0x3fc7851a
	s_mov_b32 s48, s38
	v_add_f64 v[10:11], v[12:13], v[10:11]
	v_mul_f64 v[12:13], v[114:115], s[48:49]
	v_accvgpr_write_b32 a37, v13
	v_accvgpr_write_b32 a36, v12
	v_fma_f64 v[12:13], v[150:151], s[36:37], -v[12:13]
	v_add_f64 v[8:9], v[12:13], v[8:9]
	v_mul_f64 v[12:13], v[112:113], s[36:37]
	v_accvgpr_write_b32 a53, v13
	v_accvgpr_write_b32 a52, v12
	v_fma_f64 v[12:13], s[48:49], v[154:155], v[12:13]
	v_add_f64 v[10:11], v[12:13], v[10:11]
	v_mul_f64 v[12:13], v[118:119], s[44:45]
	v_accvgpr_write_b32 a39, v13
	v_accvgpr_write_b32 a38, v12
	v_fma_f64 v[12:13], v[156:157], s[20:21], -v[12:13]
	v_add_f64 v[8:9], v[12:13], v[8:9]
	v_mul_f64 v[12:13], v[116:117], s[20:21]
	v_accvgpr_write_b32 a55, v13
	v_accvgpr_write_b32 a54, v12
	v_fma_f64 v[12:13], s[44:45], v[160:161], v[12:13]
	s_mov_b32 s51, 0x3fe58eea
	s_mov_b32 s50, s14
	v_add_f64 v[10:11], v[12:13], v[10:11]
	v_mul_f64 v[12:13], v[224:225], s[50:51]
	v_accvgpr_write_b32 a41, v13
	v_accvgpr_write_b32 a40, v12
	v_fma_f64 v[12:13], v[164:165], s[8:9], -v[12:13]
	v_mul_f64 v[138:139], v[220:221], s[8:9]
	v_add_f64 v[8:9], v[12:13], v[8:9]
	v_fma_f64 v[12:13], s[50:51], v[166:167], v[138:139]
	v_add_f64 v[10:11], v[12:13], v[10:11]
	v_mul_f64 v[12:13], v[250:251], s[12:13]
	v_accvgpr_write_b32 a43, v13
	v_accvgpr_write_b32 a42, v12
	v_fma_f64 v[12:13], v[174:175], s[2:3], -v[12:13]
	v_mul_f64 v[140:141], v[246:247], s[2:3]
	v_add_f64 v[8:9], v[12:13], v[8:9]
	v_fma_f64 v[12:13], s[12:13], v[176:177], v[140:141]
	v_add_f64 v[10:11], v[12:13], v[10:11]
	v_mul_f64 v[12:13], v[130:131], s[18:19]
	v_accvgpr_write_b32 a47, v13
	v_accvgpr_write_b32 a46, v12
	v_fma_f64 v[12:13], v[178:179], s[16:17], -v[12:13]
	v_add_f64 v[8:9], v[12:13], v[8:9]
	v_mul_f64 v[12:13], v[126:127], s[16:17]
	v_accvgpr_write_b32 a63, v13
	v_accvgpr_write_b32 a62, v12
	v_fma_f64 v[12:13], s[18:19], v[180:181], v[12:13]
	v_add_f64 v[10:11], v[12:13], v[10:11]
	v_mul_f64 v[12:13], v[162:163], s[28:29]
	v_accvgpr_write_b32 a51, v13
	v_accvgpr_write_b32 a50, v12
	v_fma_f64 v[12:13], v[194:195], s[30:31], -v[12:13]
	v_add_f64 v[8:9], v[12:13], v[8:9]
	v_mul_f64 v[12:13], v[158:159], s[30:31]
	v_accvgpr_write_b32 a65, v13
	v_accvgpr_write_b32 a64, v12
	v_fma_f64 v[12:13], s[28:29], v[200:201], v[12:13]
	v_add_f64 v[10:11], v[12:13], v[10:11]
	v_mul_f64 v[12:13], v[104:105], s[18:19]
	v_accvgpr_write_b32 a71, v13
	v_mul_f64 v[14:15], v[106:107], s[38:39]
	v_accvgpr_write_b32 a70, v12
	v_fma_f64 v[12:13], v[134:135], s[16:17], -v[12:13]
	v_accvgpr_write_b32 a75, v15
	v_add_f64 v[12:13], v[28:29], v[12:13]
	v_accvgpr_write_b32 a74, v14
	v_fma_f64 v[14:15], v[142:143], s[36:37], -v[14:15]
	v_mul_f64 v[148:149], v[108:109], s[16:17]
	v_add_f64 v[12:13], v[14:15], v[12:13]
	v_fma_f64 v[14:15], s[18:19], v[136:137], v[148:149]
	v_mul_f64 v[168:169], v[110:111], s[36:37]
	v_add_f64 v[14:15], v[30:31], v[14:15]
	v_fma_f64 v[16:17], s[38:39], v[144:145], v[168:169]
	v_add_f64 v[14:15], v[16:17], v[14:15]
	v_mul_f64 v[16:17], v[114:115], s[44:45]
	v_accvgpr_write_b32 a85, v17
	v_accvgpr_write_b32 a84, v16
	v_fma_f64 v[16:17], v[150:151], s[20:21], -v[16:17]
	v_mul_f64 v[172:173], v[112:113], s[20:21]
	v_add_f64 v[12:13], v[16:17], v[12:13]
	v_fma_f64 v[16:17], s[44:45], v[154:155], v[172:173]
	v_mul_f64 v[146:147], v[118:119], s[46:47]
	v_add_f64 v[14:15], v[16:17], v[14:15]
	v_fma_f64 v[16:17], v[156:157], s[2:3], -v[146:147]
	v_mul_f64 v[184:185], v[116:117], s[2:3]
	v_add_f64 v[12:13], v[16:17], v[12:13]
	v_fma_f64 v[16:17], s[46:47], v[160:161], v[184:185]
	v_mul_f64 v[152:153], v[224:225], s[10:11]
	v_add_f64 v[14:15], v[16:17], v[14:15]
	;; [unrolled: 6-line block ×3, first 2 shown]
	v_fma_f64 v[16:17], v[174:175], s[30:31], -v[170:171]
	v_mul_f64 v[190:191], v[246:247], s[30:31]
	s_mov_b32 s53, 0x3fe9895b
	s_mov_b32 s52, s26
	v_add_f64 v[12:13], v[16:17], v[12:13]
	v_fma_f64 v[16:17], s[28:29], v[176:177], v[190:191]
	v_mul_f64 v[182:183], v[130:131], s[52:53]
	v_add_f64 v[14:15], v[16:17], v[14:15]
	v_fma_f64 v[16:17], v[178:179], s[24:25], -v[182:183]
	v_mul_f64 v[192:193], v[126:127], s[24:25]
	v_add_f64 v[12:13], v[16:17], v[12:13]
	v_fma_f64 v[16:17], s[52:53], v[180:181], v[192:193]
	v_mul_f64 v[186:187], v[162:163], s[50:51]
	v_add_f64 v[14:15], v[16:17], v[14:15]
	v_fma_f64 v[16:17], v[194:195], s[8:9], -v[186:187]
	v_mul_f64 v[196:197], v[158:159], s[8:9]
	;; [unrolled: 6-line block ×3, first 2 shown]
	v_add_f64 v[16:17], v[28:29], v[16:17]
	v_fma_f64 v[18:19], v[142:143], s[30:31], -v[202:203]
	v_mul_f64 v[208:209], v[108:109], s[20:21]
	v_add_f64 v[16:17], v[18:19], v[16:17]
	v_fma_f64 v[18:19], s[22:23], v[136:137], v[208:209]
	v_mul_f64 v[90:91], v[110:111], s[30:31]
	v_add_f64 v[18:19], v[30:31], v[18:19]
	v_fma_f64 v[88:89], s[34:35], v[144:145], v[90:91]
	v_mul_f64 v[204:205], v[114:115], s[50:51]
	v_add_f64 v[18:19], v[88:89], v[18:19]
	v_fma_f64 v[88:89], v[150:151], s[8:9], -v[204:205]
	v_mul_f64 v[212:213], v[112:113], s[8:9]
	v_add_f64 v[16:17], v[88:89], v[16:17]
	v_fma_f64 v[88:89], s[50:51], v[154:155], v[212:213]
	v_mul_f64 v[206:207], v[118:119], s[10:11]
	v_add_f64 v[18:19], v[88:89], v[18:19]
	v_fma_f64 v[88:89], v[156:157], s[6:7], -v[206:207]
	v_mul_f64 v[216:217], v[116:117], s[6:7]
	v_add_f64 v[16:17], v[88:89], v[16:17]
	v_fma_f64 v[88:89], s[10:11], v[160:161], v[216:217]
	v_add_f64 v[18:19], v[88:89], v[18:19]
	v_mul_f64 v[88:89], v[224:225], s[38:39]
	v_fma_f64 v[92:93], v[164:165], s[36:37], -v[88:89]
	v_add_f64 v[16:17], v[92:93], v[16:17]
	v_mul_f64 v[92:93], v[220:221], s[36:37]
	s_mov_b32 s55, 0x3fefdd0d
	s_mov_b32 s54, s18
	v_fma_f64 v[94:95], s[38:39], v[166:167], v[92:93]
	v_mul_f64 v[210:211], v[250:251], s[54:55]
	v_add_f64 v[18:19], v[94:95], v[18:19]
	v_fma_f64 v[94:95], v[174:175], s[16:17], -v[210:211]
	v_add_f64 v[16:17], v[94:95], v[16:17]
	v_mul_f64 v[94:95], v[246:247], s[16:17]
	v_fma_f64 v[96:97], s[54:55], v[176:177], v[94:95]
	v_mul_f64 v[214:215], v[130:131], s[12:13]
	v_add_f64 v[18:19], v[96:97], v[18:19]
	v_fma_f64 v[96:97], v[178:179], s[2:3], -v[214:215]
	v_mul_f64 v[222:223], v[126:127], s[2:3]
	v_add_f64 v[16:17], v[96:97], v[16:17]
	v_fma_f64 v[96:97], s[12:13], v[180:181], v[222:223]
	v_mul_f64 v[218:219], v[162:163], s[26:27]
	v_add_f64 v[18:19], v[96:97], v[18:19]
	v_fma_f64 v[96:97], v[194:195], s[24:25], -v[218:219]
	v_mul_f64 v[226:227], v[158:159], s[24:25]
	v_add_f64 v[16:17], v[96:97], v[16:17]
	v_fma_f64 v[96:97], s[26:27], v[200:201], v[226:227]
	s_movk_i32 s33, 0x4e
	v_add_f64 v[18:19], v[96:97], v[18:19]
	v_cmp_gt_u32_e32 vcc, s33, v122
	s_barrier
	s_and_saveexec_b64 s[40:41], vcc
	s_cbranch_execz .LBB0_21
; %bb.20:
	v_mul_f64 v[96:97], v[136:137], s[38:39]
	v_accvgpr_write_b32 a66, v98
	v_accvgpr_write_b32 a76, v100
	;; [unrolled: 1-line block ×3, first 2 shown]
	v_fma_f64 v[98:99], s[36:37], v[108:109], v[96:97]
	v_accvgpr_write_b32 a77, v101
	v_mul_f64 v[100:101], v[144:145], s[46:47]
	v_accvgpr_write_b32 a68, v102
	v_add_f64 v[98:99], v[30:31], v[98:99]
	v_accvgpr_write_b32 a69, v103
	v_fma_f64 v[102:103], s[2:3], v[110:111], v[100:101]
	v_add_f64 v[98:99], v[102:103], v[98:99]
	v_mul_f64 v[102:103], v[154:155], s[28:29]
	v_accvgpr_write_b32 a0, v230
	v_fma_f64 v[230:231], s[30:31], v[112:113], v[102:103]
	v_add_f64 v[98:99], v[230:231], v[98:99]
	v_mul_f64 v[230:231], v[160:161], s[50:51]
	v_accvgpr_write_b32 a86, v232
	v_accvgpr_write_b32 a87, v233
	v_fma_f64 v[232:233], s[8:9], v[116:117], v[230:231]
	v_add_f64 v[98:99], v[232:233], v[98:99]
	v_mul_f64 v[232:233], v[166:167], s[26:27]
	v_accvgpr_write_b32 a72, v234
	;; [unrolled: 5-line block ×5, first 2 shown]
	v_accvgpr_write_b32 a90, v242
	v_accvgpr_write_b32 a97, v241
	v_fma_f64 v[240:241], v[134:135], s[36:37], -v[238:239]
	v_accvgpr_write_b32 a91, v243
	v_mul_f64 v[242:243], v[106:107], s[46:47]
	v_accvgpr_write_b32 a98, v244
	v_add_f64 v[240:241], v[28:29], v[240:241]
	v_accvgpr_write_b32 a99, v245
	v_fma_f64 v[244:245], v[142:143], s[2:3], -v[242:243]
	v_add_f64 v[240:241], v[244:245], v[240:241]
	v_mul_f64 v[244:245], v[114:115], s[28:29]
	v_accvgpr_write_b32 a92, v248
	v_fma_f64 v[96:97], v[108:109], s[36:37], -v[96:97]
	v_accvgpr_write_b32 a93, v249
	v_fma_f64 v[248:249], v[150:151], s[30:31], -v[244:245]
	v_fma_f64 v[100:101], v[110:111], s[2:3], -v[100:101]
	v_add_f64 v[96:97], v[30:31], v[96:97]
	v_add_f64 v[240:241], v[248:249], v[240:241]
	v_mul_f64 v[248:249], v[118:119], s[50:51]
	v_accvgpr_write_b32 a102, v252
	v_add_f64 v[96:97], v[100:101], v[96:97]
	v_fma_f64 v[100:101], v[112:113], s[30:31], -v[102:103]
	v_accvgpr_write_b32 a103, v253
	v_fma_f64 v[252:253], v[156:157], s[8:9], -v[248:249]
	v_add_f64 v[96:97], v[100:101], v[96:97]
	v_fma_f64 v[100:101], v[116:117], s[8:9], -v[230:231]
	v_add_f64 v[240:241], v[252:253], v[240:241]
	v_mul_f64 v[252:253], v[224:225], s[26:27]
	v_accvgpr_write_b32 a106, v254
	v_add_f64 v[96:97], v[100:101], v[96:97]
	v_fma_f64 v[100:101], v[220:221], s[24:25], -v[232:233]
	v_accvgpr_write_b32 a107, v255
	v_fma_f64 v[254:255], v[164:165], s[24:25], -v[252:253]
	v_add_f64 v[96:97], v[100:101], v[96:97]
	v_fma_f64 v[100:101], v[246:247], s[6:7], -v[234:235]
	v_add_f64 v[240:241], v[254:255], v[240:241]
	v_mul_f64 v[254:255], v[250:251], s[42:43]
	v_accvgpr_write_b32 a100, v124
	v_add_f64 v[96:97], v[100:101], v[96:97]
	v_fma_f64 v[100:101], v[126:127], s[20:21], -v[236:237]
	v_fmac_f64_e32 v[238:239], s[36:37], v[134:135]
	v_accvgpr_write_b32 a101, v125
	v_fma_f64 v[124:125], v[174:175], s[6:7], -v[254:255]
	v_add_f64 v[96:97], v[100:101], v[96:97]
	v_fmac_f64_e32 v[242:243], s[2:3], v[142:143]
	v_add_f64 v[100:101], v[28:29], v[238:239]
	v_add_f64 v[124:125], v[124:125], v[240:241]
	v_mul_f64 v[240:241], v[130:131], s[22:23]
	v_accvgpr_write_b32 a94, v128
	v_add_f64 v[100:101], v[242:243], v[100:101]
	v_fmac_f64_e32 v[244:245], s[30:31], v[150:151]
	v_accvgpr_write_b32 a95, v129
	v_fma_f64 v[128:129], v[178:179], s[20:21], -v[240:241]
	v_add_f64 v[100:101], v[244:245], v[100:101]
	v_fmac_f64_e32 v[248:249], s[8:9], v[156:157]
	v_add_f64 v[124:125], v[128:129], v[124:125]
	v_mul_f64 v[128:129], v[200:201], s[54:55]
	v_accvgpr_write_b32 a104, v132
	v_add_f64 v[100:101], v[248:249], v[100:101]
	v_fmac_f64_e32 v[252:253], s[24:25], v[164:165]
	v_accvgpr_write_b32 a105, v133
	v_fma_f64 v[132:133], s[16:17], v[158:159], v[128:129]
	v_accvgpr_write_b32 a108, v140
	v_add_f64 v[100:101], v[252:253], v[100:101]
	v_fmac_f64_e32 v[254:255], s[6:7], v[174:175]
	v_accvgpr_write_b32 a109, v141
	v_add_f64 v[140:141], v[132:133], v[98:99]
	v_mul_f64 v[98:99], v[162:163], s[54:55]
	v_add_f64 v[100:101], v[254:255], v[100:101]
	v_fmac_f64_e32 v[240:241], s[20:21], v[178:179]
	v_fma_f64 v[132:133], v[194:195], s[16:17], -v[98:99]
	v_add_f64 v[100:101], v[240:241], v[100:101]
	v_fmac_f64_e32 v[98:99], s[16:17], v[194:195]
	v_fma_f64 v[102:103], v[158:159], s[16:17], -v[128:129]
	v_add_f64 v[100:101], v[98:99], v[100:101]
	v_add_f64 v[102:103], v[102:103], v[96:97]
	v_accvgpr_write_b32 a80, v100
	v_accvgpr_write_b32 a81, v101
	;; [unrolled: 1-line block ×4, first 2 shown]
	v_mul_f64 v[100:101], v[136:137], s[28:29]
	v_accvgpr_write_b32 a110, v138
	v_fma_f64 v[96:97], s[30:31], v[108:109], v[100:101]
	v_mul_f64 v[102:103], v[144:145], s[42:43]
	v_accvgpr_write_b32 a111, v139
	v_add_f64 v[138:139], v[132:133], v[124:125]
	v_add_f64 v[96:97], v[30:31], v[96:97]
	v_fma_f64 v[98:99], s[6:7], v[110:111], v[102:103]
	v_mul_f64 v[124:125], v[154:155], s[18:19]
	v_add_f64 v[96:97], v[98:99], v[96:97]
	v_fma_f64 v[98:99], s[16:17], v[112:113], v[124:125]
	v_mul_f64 v[128:129], v[160:161], s[52:53]
	;; [unrolled: 3-line block ×6, first 2 shown]
	v_add_f64 v[96:97], v[98:99], v[96:97]
	v_fma_f64 v[98:99], v[134:135], s[30:31], -v[234:235]
	v_mul_f64 v[236:237], v[106:107], s[42:43]
	v_fma_f64 v[100:101], v[108:109], s[30:31], -v[100:101]
	v_add_f64 v[98:99], v[28:29], v[98:99]
	v_fma_f64 v[238:239], v[142:143], s[6:7], -v[236:237]
	v_fma_f64 v[102:103], v[110:111], s[6:7], -v[102:103]
	v_add_f64 v[100:101], v[30:31], v[100:101]
	v_add_f64 v[98:99], v[238:239], v[98:99]
	v_mul_f64 v[238:239], v[114:115], s[18:19]
	v_add_f64 v[100:101], v[102:103], v[100:101]
	v_fma_f64 v[102:103], v[112:113], s[16:17], -v[124:125]
	v_fma_f64 v[240:241], v[150:151], s[16:17], -v[238:239]
	v_add_f64 v[100:101], v[102:103], v[100:101]
	v_fma_f64 v[102:103], v[116:117], s[24:25], -v[128:129]
	v_add_f64 v[98:99], v[240:241], v[98:99]
	v_mul_f64 v[240:241], v[118:119], s[52:53]
	v_add_f64 v[100:101], v[102:103], v[100:101]
	v_fma_f64 v[102:103], v[220:221], s[2:3], -v[132:133]
	v_fma_f64 v[242:243], v[156:157], s[24:25], -v[240:241]
	v_add_f64 v[100:101], v[102:103], v[100:101]
	v_fma_f64 v[102:103], v[246:247], s[36:37], -v[230:231]
	v_add_f64 v[98:99], v[242:243], v[98:99]
	v_mul_f64 v[242:243], v[224:225], s[12:13]
	v_add_f64 v[100:101], v[102:103], v[100:101]
	v_fma_f64 v[102:103], v[126:127], s[8:9], -v[232:233]
	v_fmac_f64_e32 v[234:235], s[30:31], v[134:135]
	v_fma_f64 v[244:245], v[164:165], s[2:3], -v[242:243]
	v_add_f64 v[100:101], v[102:103], v[100:101]
	v_fmac_f64_e32 v[236:237], s[6:7], v[142:143]
	v_add_f64 v[102:103], v[28:29], v[234:235]
	v_add_f64 v[98:99], v[244:245], v[98:99]
	v_mul_f64 v[244:245], v[250:251], s[38:39]
	v_add_f64 v[102:103], v[236:237], v[102:103]
	v_fmac_f64_e32 v[238:239], s[16:17], v[150:151]
	v_fma_f64 v[248:249], v[174:175], s[36:37], -v[244:245]
	v_add_f64 v[102:103], v[238:239], v[102:103]
	v_fmac_f64_e32 v[240:241], s[24:25], v[156:157]
	v_add_f64 v[98:99], v[248:249], v[98:99]
	v_mul_f64 v[248:249], v[130:131], s[50:51]
	v_add_f64 v[102:103], v[240:241], v[102:103]
	v_fmac_f64_e32 v[242:243], s[2:3], v[164:165]
	v_accvgpr_write_b32 a56, v138
	v_fma_f64 v[252:253], v[178:179], s[8:9], -v[248:249]
	v_mul_f64 v[254:255], v[200:201], s[22:23]
	v_add_f64 v[102:103], v[242:243], v[102:103]
	v_fmac_f64_e32 v[244:245], s[36:37], v[174:175]
	v_accvgpr_write_b32 a57, v139
	v_accvgpr_write_b32 a58, v140
	;; [unrolled: 1-line block ×3, first 2 shown]
	v_add_f64 v[252:253], v[252:253], v[98:99]
	v_fma_f64 v[98:99], s[20:21], v[158:159], v[254:255]
	v_mul_f64 v[138:139], v[162:163], s[22:23]
	v_add_f64 v[102:103], v[244:245], v[102:103]
	v_fmac_f64_e32 v[248:249], s[8:9], v[178:179]
	v_add_f64 v[98:99], v[98:99], v[96:97]
	v_fma_f64 v[96:97], v[194:195], s[20:21], -v[138:139]
	v_add_f64 v[124:125], v[248:249], v[102:103]
	v_fma_f64 v[102:103], v[158:159], s[20:21], -v[254:255]
	v_fmac_f64_e32 v[138:139], s[20:21], v[194:195]
	v_add_f64 v[102:103], v[102:103], v[100:101]
	v_add_f64 v[100:101], v[138:139], v[124:125]
	v_mul_f64 v[124:125], v[136:137], s[26:27]
	v_fma_f64 v[128:129], s[24:25], v[108:109], v[124:125]
	v_mul_f64 v[132:133], v[144:145], s[44:45]
	v_add_f64 v[128:129], v[30:31], v[128:129]
	v_fma_f64 v[138:139], s[20:21], v[110:111], v[132:133]
	v_add_f64 v[128:129], v[138:139], v[128:129]
	v_mul_f64 v[138:139], v[154:155], s[12:13]
	v_fma_f64 v[230:231], s[2:3], v[112:113], v[138:139]
	v_add_f64 v[128:129], v[230:231], v[128:129]
	v_mul_f64 v[230:231], v[160:161], s[28:29]
	;; [unrolled: 3-line block ×5, first 2 shown]
	v_fma_f64 v[238:239], s[36:37], v[126:127], v[236:237]
	v_mul_f64 v[240:241], v[104:105], s[26:27]
	v_add_f64 v[128:129], v[238:239], v[128:129]
	v_mul_f64 v[238:239], v[106:107], s[44:45]
	v_fma_f64 v[104:105], v[134:135], s[24:25], -v[240:241]
	v_add_f64 v[104:105], v[28:29], v[104:105]
	v_fma_f64 v[106:107], v[142:143], s[20:21], -v[238:239]
	v_mul_f64 v[114:115], v[114:115], s[12:13]
	v_add_f64 v[104:105], v[106:107], v[104:105]
	v_fma_f64 v[106:107], v[150:151], s[2:3], -v[114:115]
	v_mul_f64 v[118:119], v[118:119], s[28:29]
	;; [unrolled: 3-line block ×5, first 2 shown]
	v_fma_f64 v[108:109], v[108:109], s[24:25], -v[124:125]
	v_add_f64 v[104:105], v[106:107], v[104:105]
	v_fma_f64 v[106:107], v[178:179], s[36:37], -v[130:131]
	v_mul_f64 v[244:245], v[200:201], s[42:43]
	v_fma_f64 v[110:111], v[110:111], s[20:21], -v[132:133]
	v_add_f64 v[108:109], v[30:31], v[108:109]
	v_add_f64 v[104:105], v[106:107], v[104:105]
	v_fma_f64 v[106:107], s[6:7], v[158:159], v[244:245]
	v_fma_f64 v[112:113], v[112:113], s[2:3], -v[138:139]
	v_add_f64 v[108:109], v[110:111], v[108:109]
	v_add_f64 v[106:107], v[106:107], v[128:129]
	v_mul_f64 v[128:129], v[162:163], s[42:43]
	v_fma_f64 v[116:117], v[116:117], s[30:31], -v[230:231]
	v_add_f64 v[108:109], v[112:113], v[108:109]
	v_fmac_f64_e32 v[240:241], s[24:25], v[134:135]
	v_fma_f64 v[162:163], v[194:195], s[6:7], -v[128:129]
	v_fma_f64 v[220:221], v[220:221], s[16:17], -v[232:233]
	v_add_f64 v[108:109], v[116:117], v[108:109]
	v_fmac_f64_e32 v[238:239], s[20:21], v[142:143]
	v_add_f64 v[110:111], v[28:29], v[240:241]
	v_mul_f64 v[124:125], v[144:145], s[34:35]
	v_add_f64 v[104:105], v[162:163], v[104:105]
	v_fma_f64 v[162:163], v[246:247], s[8:9], -v[234:235]
	v_add_f64 v[108:109], v[220:221], v[108:109]
	v_add_f64 v[110:111], v[238:239], v[110:111]
	v_fmac_f64_e32 v[114:115], s[2:3], v[150:151]
	v_add_f64 v[90:91], v[90:91], -v[124:125]
	v_mul_f64 v[124:125], v[136:137], s[22:23]
	v_fma_f64 v[126:127], v[126:127], s[36:37], -v[236:237]
	v_add_f64 v[108:109], v[162:163], v[108:109]
	v_add_f64 v[110:111], v[114:115], v[110:111]
	v_fmac_f64_e32 v[118:119], s[30:31], v[156:157]
	v_add_f64 v[124:125], v[208:209], -v[124:125]
	v_add_f64 v[108:109], v[126:127], v[108:109]
	v_add_f64 v[110:111], v[118:119], v[110:111]
	v_mul_f64 v[118:119], v[154:155], s[50:51]
	v_add_f64 v[124:125], v[30:31], v[124:125]
	v_mul_f64 v[126:127], v[134:135], s[20:21]
	v_fmac_f64_e32 v[224:225], s[16:17], v[164:165]
	v_mul_f64 v[116:117], v[176:177], s[54:55]
	v_add_f64 v[118:119], v[212:213], -v[118:119]
	v_add_f64 v[90:91], v[90:91], v[124:125]
	v_mul_f64 v[124:125], v[142:143], s[30:31]
	v_add_f64 v[126:127], v[126:127], v[198:199]
	v_add_f64 v[110:111], v[224:225], v[110:111]
	v_fmac_f64_e32 v[242:243], s[8:9], v[174:175]
	v_add_f64 v[94:95], v[94:95], -v[116:117]
	v_mul_f64 v[116:117], v[166:167], s[38:39]
	v_add_f64 v[90:91], v[118:119], v[90:91]
	v_mul_f64 v[118:119], v[150:151], s[8:9]
	v_add_f64 v[124:125], v[124:125], v[202:203]
	v_add_f64 v[126:127], v[28:29], v[126:127]
	;; [unrolled: 1-line block ×3, first 2 shown]
	v_fmac_f64_e32 v[130:131], s[36:37], v[178:179]
	v_add_f64 v[92:93], v[92:93], -v[116:117]
	v_mul_f64 v[116:117], v[160:161], s[10:11]
	v_add_f64 v[118:119], v[118:119], v[204:205]
	v_add_f64 v[124:125], v[124:125], v[126:127]
	v_mul_f64 v[126:127], v[136:137], s[18:19]
	v_fma_f64 v[158:159], v[158:159], s[6:7], -v[244:245]
	v_add_f64 v[112:113], v[130:131], v[110:111]
	v_fmac_f64_e32 v[128:129], s[6:7], v[194:195]
	v_add_f64 v[116:117], v[216:217], -v[116:117]
	v_add_f64 v[118:119], v[118:119], v[124:125]
	v_mul_f64 v[124:125], v[144:145], s[38:39]
	v_add_f64 v[126:127], v[148:149], -v[126:127]
	v_add_f64 v[110:111], v[158:159], v[108:109]
	v_add_f64 v[108:109], v[128:129], v[112:113]
	;; [unrolled: 1-line block ×3, first 2 shown]
	v_mul_f64 v[116:117], v[164:165], s[36:37]
	v_add_f64 v[124:125], v[168:169], -v[124:125]
	v_add_f64 v[126:127], v[30:31], v[126:127]
	v_accvgpr_read_b32 v129, a85
	v_mul_f64 v[114:115], v[180:181], s[12:13]
	v_add_f64 v[90:91], v[92:93], v[90:91]
	v_add_f64 v[88:89], v[116:117], v[88:89]
	v_mul_f64 v[116:117], v[156:157], s[6:7]
	v_add_f64 v[124:125], v[124:125], v[126:127]
	v_mul_f64 v[126:127], v[150:151], s[20:21]
	v_accvgpr_read_b32 v128, a84
	v_accvgpr_read_b32 v131, a75
	v_add_f64 v[114:115], v[222:223], -v[114:115]
	v_add_f64 v[90:91], v[94:95], v[90:91]
	v_add_f64 v[116:117], v[116:117], v[206:207]
	;; [unrolled: 1-line block ×3, first 2 shown]
	v_mul_f64 v[128:129], v[142:143], s[36:37]
	v_accvgpr_read_b32 v130, a74
	v_accvgpr_read_b32 v133, a71
	v_add_f64 v[90:91], v[114:115], v[90:91]
	v_mul_f64 v[114:115], v[174:175], s[16:17]
	v_add_f64 v[116:117], v[116:117], v[118:119]
	v_add_f64 v[128:129], v[128:129], v[130:131]
	v_mul_f64 v[130:131], v[134:135], s[16:17]
	v_accvgpr_read_b32 v132, a70
	v_mul_f64 v[94:95], v[178:179], s[2:3]
	v_add_f64 v[114:115], v[114:115], v[210:211]
	v_add_f64 v[88:89], v[88:89], v[116:117]
	v_mul_f64 v[118:119], v[154:155], s[44:45]
	v_add_f64 v[130:131], v[130:131], v[132:133]
	v_mul_f64 v[112:113], v[200:201], s[26:27]
	v_mul_f64 v[92:93], v[194:195], s[24:25]
	v_add_f64 v[94:95], v[94:95], v[214:215]
	v_add_f64 v[88:89], v[114:115], v[88:89]
	v_mul_f64 v[116:117], v[160:161], s[46:47]
	v_add_f64 v[118:119], v[172:173], -v[118:119]
	v_add_f64 v[130:131], v[28:29], v[130:131]
	v_add_f64 v[112:113], v[226:227], -v[112:113]
	v_add_f64 v[92:93], v[92:93], v[218:219]
	v_add_f64 v[88:89], v[94:95], v[88:89]
	v_mul_f64 v[94:95], v[166:167], s[10:11]
	v_add_f64 v[116:117], v[184:185], -v[116:117]
	v_add_f64 v[118:119], v[118:119], v[124:125]
	v_mul_f64 v[124:125], v[156:157], s[2:3]
	v_add_f64 v[128:129], v[128:129], v[130:131]
	v_add_f64 v[114:115], v[112:113], v[90:91]
	;; [unrolled: 1-line block ×3, first 2 shown]
	v_mul_f64 v[92:93], v[176:177], s[28:29]
	v_add_f64 v[94:95], v[188:189], -v[94:95]
	v_add_f64 v[116:117], v[116:117], v[118:119]
	v_mul_f64 v[118:119], v[164:165], s[6:7]
	v_add_f64 v[124:125], v[124:125], v[146:147]
	v_add_f64 v[126:127], v[126:127], v[128:129]
	v_mul_f64 v[90:91], v[180:181], s[52:53]
	v_add_f64 v[92:93], v[190:191], -v[92:93]
	v_add_f64 v[94:95], v[94:95], v[116:117]
	v_mul_f64 v[116:117], v[174:175], s[30:31]
	v_add_f64 v[118:119], v[118:119], v[152:153]
	v_add_f64 v[124:125], v[124:125], v[126:127]
	;; [unrolled: 6-line block ×3, first 2 shown]
	v_add_f64 v[88:89], v[196:197], -v[88:89]
	v_add_f64 v[90:91], v[90:91], v[92:93]
	v_mul_f64 v[92:93], v[194:195], s[8:9]
	v_add_f64 v[94:95], v[94:95], v[182:183]
	v_add_f64 v[116:117], v[116:117], v[118:119]
	;; [unrolled: 1-line block ×5, first 2 shown]
	v_accvgpr_read_b32 v91, a65
	v_add_f64 v[116:117], v[92:93], v[94:95]
	v_mul_f64 v[88:89], v[200:201], s[28:29]
	v_accvgpr_read_b32 v90, a64
	v_accvgpr_read_b32 v93, a63
	v_add_f64 v[88:89], v[90:91], -v[88:89]
	v_mul_f64 v[90:91], v[180:181], s[18:19]
	v_accvgpr_read_b32 v92, a62
	v_accvgpr_read_b32 v94, a108
	v_add_f64 v[90:91], v[92:93], -v[90:91]
	;; [unrolled: 4-line block ×7, first 2 shown]
	v_mul_f64 v[130:131], v[136:137], s[10:11]
	v_accvgpr_read_b32 v132, a44
	v_add_f64 v[130:131], v[132:133], -v[130:131]
	v_add_f64 v[130:131], v[30:31], v[130:131]
	v_add_f64 v[128:129], v[128:129], v[130:131]
	;; [unrolled: 1-line block ×6, first 2 shown]
	v_accvgpr_read_b32 v95, a51
	v_add_f64 v[90:91], v[90:91], v[92:93]
	v_mul_f64 v[92:93], v[194:195], s[30:31]
	v_accvgpr_read_b32 v94, a50
	v_accvgpr_read_b32 v139, a47
	v_add_f64 v[92:93], v[92:93], v[94:95]
	v_mul_f64 v[94:95], v[178:179], s[16:17]
	v_accvgpr_read_b32 v138, a46
	;; [unrolled: 4-line block ×5, first 2 shown]
	v_accvgpr_read_b32 v153, a37
	v_accvgpr_read_b32 v163, a33
	v_mul_f64 v[130:131], v[134:135], s[2:3]
	v_mul_f64 v[126:127], v[134:135], s[8:9]
	;; [unrolled: 1-line block ×3, first 2 shown]
	v_add_f64 v[146:147], v[146:147], v[148:149]
	v_mul_f64 v[148:149], v[150:151], s[36:37]
	v_accvgpr_read_b32 v152, a36
	v_accvgpr_read_b32 v159, a35
	;; [unrolled: 1-line block ×3, first 2 shown]
	v_mul_f64 v[124:125], v[142:143], s[8:9]
	v_add_f64 v[148:149], v[148:149], v[152:153]
	v_mul_f64 v[152:153], v[142:143], s[16:17]
	v_mul_f64 v[142:143], v[142:143], s[24:25]
	v_accvgpr_read_b32 v158, a34
	v_add_f64 v[134:135], v[134:135], v[162:163]
	v_add_f64 v[142:143], v[142:143], v[158:159]
	;; [unrolled: 1-line block ×4, first 2 shown]
	v_accvgpr_read_b32 v185, a27
	v_add_f64 v[134:135], v[148:149], v[134:135]
	v_mul_f64 v[170:171], v[176:177], s[44:45]
	v_accvgpr_read_b32 v184, a26
	v_add_f64 v[134:135], v[146:147], v[134:135]
	v_add_f64 v[170:171], v[184:185], -v[170:171]
	v_accvgpr_read_b32 v185, a23
	v_add_f64 v[134:135], v[140:141], v[134:135]
	v_mul_f64 v[140:141], v[166:167], s[22:23]
	v_mul_f64 v[166:167], v[166:167], s[34:35]
	v_accvgpr_read_b32 v184, a22
	v_add_f64 v[166:167], v[184:185], -v[166:167]
	v_accvgpr_read_b32 v185, a19
	v_mul_f64 v[148:149], v[160:161], s[18:19]
	v_mul_f64 v[160:161], v[160:161], s[38:39]
	v_accvgpr_read_b32 v184, a18
	v_add_f64 v[160:161], v[184:185], -v[160:161]
	v_accvgpr_read_b32 v185, a15
	;; [unrolled: 5-line block ×3, first 2 shown]
	v_mul_f64 v[128:129], v[136:137], s[12:13]
	v_mul_f64 v[132:133], v[136:137], s[14:15]
	;; [unrolled: 1-line block ×4, first 2 shown]
	v_accvgpr_read_b32 v184, a10
	v_add_f64 v[144:145], v[184:185], -v[144:145]
	v_accvgpr_read_b32 v185, a9
	v_accvgpr_read_b32 v184, a8
	v_add_f64 v[132:133], v[184:185], -v[132:133]
	v_add_f64 v[132:133], v[30:31], v[132:133]
	v_add_f64 v[132:133], v[144:145], v[132:133]
	;; [unrolled: 1-line block ×4, first 2 shown]
	v_accvgpr_read_b32 v161, a7
	v_mul_f64 v[142:143], v[156:157], s[16:17]
	v_mul_f64 v[156:157], v[156:157], s[36:37]
	v_accvgpr_read_b32 v160, a6
	v_add_f64 v[156:157], v[156:157], v[160:161]
	v_accvgpr_read_b32 v161, a5
	v_mul_f64 v[158:159], v[150:151], s[6:7]
	v_mul_f64 v[150:151], v[150:151], s[24:25]
	v_accvgpr_read_b32 v160, a4
	v_add_f64 v[150:151], v[150:151], v[160:161]
	v_accvgpr_read_b32 v161, a3
	v_accvgpr_read_b32 v160, a2
	v_add_f64 v[152:153], v[152:153], v[160:161]
	v_accvgpr_read_b32 v161, a107
	v_accvgpr_read_b32 v160, a106
	v_add_f64 v[126:127], v[126:127], v[160:161]
	v_add_f64 v[126:127], v[28:29], v[126:127]
	v_accvgpr_read_b32 v155, a13
	v_add_f64 v[126:127], v[152:153], v[126:127]
	v_mul_f64 v[146:147], v[164:165], s[20:21]
	v_mul_f64 v[164:165], v[164:165], s[30:31]
	v_accvgpr_read_b32 v145, a17
	v_accvgpr_read_b32 v154, a12
	v_add_f64 v[126:127], v[150:151], v[126:127]
	v_mul_f64 v[168:169], v[174:175], s[20:21]
	v_accvgpr_read_b32 v144, a16
	v_add_f64 v[154:155], v[164:165], v[154:155]
	v_add_f64 v[126:127], v[156:157], v[126:127]
	;; [unrolled: 1-line block ×6, first 2 shown]
	v_accvgpr_read_b32 v145, a97
	v_add_f64 v[94:95], v[94:95], v[134:135]
	v_mul_f64 v[134:135], v[176:177], s[26:27]
	v_accvgpr_read_b32 v144, a96
	v_add_f64 v[134:135], v[144:145], -v[134:135]
	v_accvgpr_read_b32 v145, a89
	v_accvgpr_read_b32 v151, a101
	;; [unrolled: 1-line block ×4, first 2 shown]
	v_add_f64 v[140:141], v[144:145], -v[140:141]
	v_accvgpr_read_b32 v145, a87
	v_add_f64 v[136:137], v[150:151], -v[136:137]
	v_accvgpr_read_b32 v151, a77
	v_accvgpr_read_b32 v144, a86
	v_accvgpr_read_b32 v150, a76
	v_add_f64 v[144:145], v[144:145], -v[148:149]
	v_accvgpr_read_b32 v149, a105
	v_add_f64 v[128:129], v[150:151], -v[128:129]
	v_accvgpr_read_b32 v148, a104
	v_add_f64 v[128:129], v[30:31], v[128:129]
	v_add_f64 v[148:149], v[148:149], -v[162:163]
	v_add_f64 v[128:129], v[136:137], v[128:129]
	v_add_f64 v[128:129], v[148:149], v[128:129]
	;; [unrolled: 1-line block ×6, first 2 shown]
	v_accvgpr_read_b32 v135, a79
	v_add_f64 v[26:27], v[30:31], v[26:27]
	v_add_f64 v[24:25], v[24:25], v[32:33]
	v_mul_f64 v[138:139], v[174:175], s[24:25]
	v_accvgpr_read_b32 v134, a78
	v_add_f64 v[26:27], v[26:27], v[34:35]
	v_add_f64 v[24:25], v[24:25], v[36:37]
	;; [unrolled: 1-line block ×4, first 2 shown]
	v_accvgpr_read_b32 v95, a31
	v_add_f64 v[134:135], v[138:139], v[134:135]
	v_accvgpr_read_b32 v139, a61
	v_add_f64 v[26:27], v[26:27], v[38:39]
	v_add_f64 v[24:25], v[24:25], v[52:53]
	v_mul_f64 v[172:173], v[178:179], s[30:31]
	v_mul_f64 v[92:93], v[200:201], s[46:47]
	v_accvgpr_read_b32 v94, a30
	v_mul_f64 v[176:177], v[178:179], s[6:7]
	v_accvgpr_read_b32 v179, a29
	v_accvgpr_read_b32 v138, a60
	v_add_f64 v[26:27], v[26:27], v[54:55]
	v_add_f64 v[24:25], v[24:25], v[56:57]
	v_add_f64 v[92:93], v[94:95], -v[92:93]
	v_mul_f64 v[94:95], v[180:181], s[42:43]
	v_accvgpr_read_b32 v178, a28
	v_add_f64 v[132:133], v[166:167], v[132:133]
	v_add_f64 v[138:139], v[142:143], v[138:139]
	v_accvgpr_read_b32 v143, a69
	v_add_f64 v[26:27], v[26:27], v[58:59]
	v_add_f64 v[24:25], v[24:25], v[68:69]
	v_add_f64 v[94:95], v[178:179], -v[94:95]
	v_add_f64 v[132:133], v[170:171], v[132:133]
	v_accvgpr_read_b32 v142, a68
	v_add_f64 v[26:27], v[26:27], v[70:71]
	v_add_f64 v[24:25], v[24:25], v[72:73]
	;; [unrolled: 1-line block ×3, first 2 shown]
	v_accvgpr_read_b32 v133, a21
	v_add_f64 v[124:125], v[124:125], v[142:143]
	v_accvgpr_read_b32 v143, a67
	v_add_f64 v[26:27], v[26:27], v[74:75]
	v_add_f64 v[24:25], v[24:25], v[80:81]
	;; [unrolled: 1-line block ×3, first 2 shown]
	v_accvgpr_read_b32 v93, a25
	v_accvgpr_read_b32 v132, a20
	;; [unrolled: 1-line block ×3, first 2 shown]
	v_add_f64 v[26:27], v[26:27], v[82:83]
	v_add_f64 v[24:25], v[24:25], v[84:85]
	v_mul_f64 v[182:183], v[194:195], s[2:3]
	v_accvgpr_read_b32 v92, a24
	v_add_f64 v[132:133], v[176:177], v[132:133]
	v_accvgpr_read_b32 v141, a95
	v_add_f64 v[130:131], v[130:131], v[142:143]
	v_add_f64 v[26:27], v[26:27], v[86:87]
	;; [unrolled: 1-line block ×5, first 2 shown]
	v_accvgpr_read_b32 v133, a99
	v_accvgpr_read_b32 v140, a94
	v_add_f64 v[130:131], v[28:29], v[130:131]
	v_add_f64 v[26:27], v[26:27], v[78:79]
	;; [unrolled: 1-line block ×3, first 2 shown]
	v_mul_f64 v[174:175], v[180:181], s[28:29]
	v_add_f64 v[92:93], v[92:93], v[126:127]
	v_accvgpr_read_b32 v127, a103
	v_accvgpr_read_b32 v132, a98
	;; [unrolled: 1-line block ×3, first 2 shown]
	v_add_f64 v[140:141], v[158:159], v[140:141]
	v_add_f64 v[124:125], v[124:125], v[130:131]
	;; [unrolled: 1-line block ×4, first 2 shown]
	v_mul_f64 v[180:181], v[200:201], s[38:39]
	v_accvgpr_read_b32 v126, a102
	v_add_f64 v[132:133], v[132:133], -v[174:175]
	v_accvgpr_read_b32 v136, a72
	v_add_f64 v[124:125], v[140:141], v[124:125]
	v_add_f64 v[26:27], v[26:27], v[62:63]
	;; [unrolled: 1-line block ×3, first 2 shown]
	v_add_f64 v[126:127], v[126:127], -v[180:181]
	v_add_f64 v[128:129], v[132:133], v[128:129]
	v_accvgpr_read_b32 v133, a91
	v_add_f64 v[136:137], v[146:147], v[136:137]
	v_add_f64 v[124:125], v[138:139], v[124:125]
	v_add_f64 v[26:27], v[26:27], v[50:51]
	v_add_f64 v[24:25], v[24:25], v[44:45]
	v_add_f64 v[126:127], v[126:127], v[128:129]
	v_accvgpr_read_b32 v129, a93
	v_accvgpr_read_b32 v132, a90
	v_add_f64 v[124:125], v[136:137], v[124:125]
	v_add_f64 v[26:27], v[26:27], v[46:47]
	;; [unrolled: 1-line block ×3, first 2 shown]
	v_mul_f64 v[178:179], v[194:195], s[36:37]
	v_accvgpr_read_b32 v128, a92
	v_add_f64 v[132:133], v[172:173], v[132:133]
	v_add_f64 v[124:125], v[134:135], v[124:125]
	;; [unrolled: 1-line block ×4, first 2 shown]
	v_mul_u32_u24_e32 v24, 0x110, v122
	v_accvgpr_read_b32 v230, a0
	v_add_f64 v[128:129], v[178:179], v[128:129]
	v_add_f64 v[124:125], v[132:133], v[124:125]
	;; [unrolled: 1-line block ×3, first 2 shown]
	v_add3_u32 v24, 0, v24, v229
	v_add_f64 v[96:97], v[96:97], v[252:253]
	v_add_f64 v[124:125], v[128:129], v[124:125]
	ds_write_b128 v24, v[20:23]
	ds_write_b128 v24, v[124:127] offset:16
	ds_write_b128 v24, v[92:95] offset:32
	;; [unrolled: 1-line block ×16, first 2 shown]
.LBB0_21:
	s_or_b64 exec, exec, s[40:41]
	s_waitcnt lgkmcnt(0)
	s_barrier
	ds_read_b128 v[28:31], v228
	ds_read_b128 v[24:27], v123 offset:1632
	ds_read_b128 v[52:55], v123 offset:3536
	;; [unrolled: 1-line block ×11, first 2 shown]
	v_cmp_gt_u32_e32 vcc, 17, v122
                                        ; implicit-def: $vgpr22_vgpr23
	s_and_saveexec_b64 s[2:3], vcc
	s_cbranch_execz .LBB0_23
; %bb.22:
	ds_read_b128 v[16:19], v123 offset:3264
	ds_read_b128 v[12:15], v123 offset:6800
	;; [unrolled: 1-line block ×6, first 2 shown]
.LBB0_23:
	s_or_b64 exec, exec, s[2:3]
	s_movk_i32 s2, 0xf1
	v_mul_lo_u16_sdwa v72, v122, s2 dst_sel:DWORD dst_unused:UNUSED_PAD src0_sel:BYTE_0 src1_sel:DWORD
	v_lshrrev_b16_e32 v136, 12, v72
	v_add_u16_e32 v90, 0x66, v122
	v_mul_lo_u16_e32 v72, 17, v136
	v_mul_lo_u16_sdwa v91, v90, s2 dst_sel:DWORD dst_unused:UNUSED_PAD src0_sel:BYTE_0 src1_sel:DWORD
	v_sub_u16_e32 v137, v122, v72
	v_mov_b32_e32 v88, 5
	v_lshrrev_b16_e32 v138, 12, v91
	v_mul_u32_u24_sdwa v72, v137, v88 dst_sel:DWORD dst_unused:UNUSED_PAD src0_sel:BYTE_0 src1_sel:DWORD
	v_mul_lo_u16_e32 v91, 17, v138
	v_lshlrev_b32_e32 v89, 4, v72
	v_sub_u16_e32 v139, v90, v91
	global_load_dwordx4 v[72:75], v89, s[4:5] offset:16
	global_load_dwordx4 v[76:79], v89, s[4:5]
	global_load_dwordx4 v[80:83], v89, s[4:5] offset:48
	global_load_dwordx4 v[84:87], v89, s[4:5] offset:32
	v_mul_u32_u24_sdwa v92, v139, v88 dst_sel:DWORD dst_unused:UNUSED_PAD src0_sel:BYTE_0 src1_sel:DWORD
	global_load_dwordx4 v[88:91], v89, s[4:5] offset:64
	v_lshlrev_b32_e32 v112, 4, v92
	global_load_dwordx4 v[92:95], v112, s[4:5]
	global_load_dwordx4 v[96:99], v112, s[4:5] offset:16
	global_load_dwordx4 v[100:103], v112, s[4:5] offset:32
	;; [unrolled: 1-line block ×4, first 2 shown]
	s_mov_b32 s6, 0xe8584caa
	s_mov_b32 s7, 0xbfebb67a
	s_mov_b32 s3, 0x3febb67a
	s_mov_b32 s2, s6
	s_movk_i32 s8, 0x660
	s_waitcnt lgkmcnt(0)
	s_barrier
	s_waitcnt vmcnt(9)
	v_mul_f64 v[114:115], v[58:59], v[74:75]
	s_waitcnt vmcnt(8)
	v_mul_f64 v[112:113], v[54:55], v[78:79]
	v_mul_f64 v[78:79], v[52:53], v[78:79]
	;; [unrolled: 1-line block ×3, first 2 shown]
	s_waitcnt vmcnt(6)
	v_mul_f64 v[116:117], v[62:63], v[86:87]
	v_mul_f64 v[86:87], v[60:61], v[86:87]
	;; [unrolled: 1-line block ×4, first 2 shown]
	s_waitcnt vmcnt(5)
	v_mul_f64 v[124:125], v[70:71], v[90:91]
	v_mul_f64 v[90:91], v[68:69], v[90:91]
	s_waitcnt vmcnt(4)
	v_mul_f64 v[126:127], v[34:35], v[94:95]
	v_fmac_f64_e32 v[114:115], v[56:57], v[72:73]
	v_mul_f64 v[94:95], v[32:33], v[94:95]
	s_waitcnt vmcnt(3)
	v_mul_f64 v[128:129], v[38:39], v[98:99]
	v_mul_f64 v[98:99], v[36:37], v[98:99]
	s_waitcnt vmcnt(2)
	v_mul_f64 v[130:131], v[42:43], v[102:103]
	v_fmac_f64_e32 v[112:113], v[52:53], v[76:77]
	v_fma_f64 v[52:53], v[54:55], v[76:77], -v[78:79]
	v_fma_f64 v[54:55], v[58:59], v[72:73], -v[74:75]
	v_fmac_f64_e32 v[116:117], v[60:61], v[84:85]
	v_fma_f64 v[56:57], v[62:63], v[84:85], -v[86:87]
	v_fmac_f64_e32 v[118:119], v[64:65], v[80:81]
	v_fma_f64 v[58:59], v[66:67], v[80:81], -v[82:83]
	v_fma_f64 v[60:61], v[70:71], v[88:89], -v[90:91]
	v_fmac_f64_e32 v[126:127], v[32:33], v[92:93]
	v_add_f64 v[32:33], v[28:29], v[114:115]
	v_mul_f64 v[102:103], v[40:41], v[102:103]
	s_waitcnt vmcnt(1)
	v_mul_f64 v[132:133], v[46:47], v[106:107]
	v_mul_f64 v[106:107], v[44:45], v[106:107]
	s_waitcnt vmcnt(0)
	v_mul_f64 v[134:135], v[50:51], v[110:111]
	v_mul_f64 v[110:111], v[48:49], v[110:111]
	v_fmac_f64_e32 v[124:125], v[68:69], v[88:89]
	v_fmac_f64_e32 v[128:129], v[36:37], v[96:97]
	v_fma_f64 v[64:65], v[38:39], v[96:97], -v[98:99]
	v_fmac_f64_e32 v[130:131], v[40:41], v[100:101]
	v_add_f64 v[36:37], v[54:55], -v[58:59]
	v_add_f64 v[38:39], v[30:31], v[54:55]
	v_add_f64 v[40:41], v[54:55], v[58:59]
	;; [unrolled: 1-line block ×4, first 2 shown]
	v_fma_f64 v[66:67], v[42:43], v[100:101], -v[102:103]
	v_fma_f64 v[68:69], v[46:47], v[104:105], -v[106:107]
	;; [unrolled: 1-line block ×3, first 2 shown]
	v_add_f64 v[42:43], v[114:115], -v[118:119]
	v_add_f64 v[46:47], v[116:117], v[124:125]
	v_add_f64 v[50:51], v[52:53], v[56:57]
	v_fmac_f64_e32 v[30:31], -0.5, v[40:41]
	v_fmac_f64_e32 v[52:53], -0.5, v[32:33]
	v_add_f64 v[32:33], v[116:117], -v[124:125]
	v_fmac_f64_e32 v[132:133], v[44:45], v[104:105]
	v_fmac_f64_e32 v[134:135], v[48:49], v[108:109]
	v_add_f64 v[44:45], v[112:113], v[116:117]
	v_add_f64 v[48:49], v[56:57], -v[60:61]
	v_fmac_f64_e32 v[112:113], -0.5, v[46:47]
	v_fma_f64 v[72:73], s[2:3], v[42:43], v[30:31]
	v_fmac_f64_e32 v[30:31], s[6:7], v[42:43]
	v_fma_f64 v[42:43], s[2:3], v[32:33], v[52:53]
	v_fmac_f64_e32 v[52:53], s[6:7], v[32:33]
	v_fma_f64 v[62:63], v[34:35], v[92:93], -v[94:95]
	v_add_f64 v[34:35], v[114:115], v[118:119]
	v_add_f64 v[58:59], v[38:39], v[58:59]
	v_fma_f64 v[38:39], s[6:7], v[48:49], v[112:113]
	v_fmac_f64_e32 v[112:113], s[2:3], v[48:49]
	v_mul_f64 v[56:57], v[52:53], s[6:7]
	v_mul_f64 v[52:53], v[52:53], -0.5
	v_fmac_f64_e32 v[28:29], -0.5, v[34:35]
	v_add_f64 v[46:47], v[50:51], v[60:61]
	v_mul_f64 v[48:49], v[42:43], s[6:7]
	v_mul_f64 v[60:61], v[42:43], 0.5
	v_fmac_f64_e32 v[52:53], s[2:3], v[112:113]
	v_fma_f64 v[50:51], s[6:7], v[36:37], v[28:29]
	v_fmac_f64_e32 v[48:49], 0.5, v[38:39]
	v_fmac_f64_e32 v[60:61], s[2:3], v[38:39]
	v_add_f64 v[42:43], v[30:31], v[52:53]
	v_add_f64 v[30:31], v[30:31], -v[52:53]
	v_add_f64 v[52:53], v[24:25], v[128:129]
	v_fmac_f64_e32 v[28:29], s[2:3], v[36:37]
	v_add_f64 v[36:37], v[50:51], v[48:49]
	v_add_f64 v[38:39], v[72:73], v[60:61]
	v_add_f64 v[48:49], v[50:51], -v[48:49]
	v_add_f64 v[50:51], v[72:73], -v[60:61]
	v_add_f64 v[72:73], v[52:53], v[132:133]
	v_add_f64 v[52:53], v[128:129], v[132:133]
	v_fmac_f64_e32 v[24:25], -0.5, v[52:53]
	v_add_f64 v[52:53], v[64:65], -v[68:69]
	v_fma_f64 v[74:75], s[6:7], v[52:53], v[24:25]
	v_fmac_f64_e32 v[24:25], s[2:3], v[52:53]
	v_add_f64 v[52:53], v[26:27], v[64:65]
	v_add_f64 v[76:77], v[52:53], v[68:69]
	v_add_f64 v[52:53], v[64:65], v[68:69]
	v_fmac_f64_e32 v[26:27], -0.5, v[52:53]
	v_add_f64 v[52:53], v[128:129], -v[132:133]
	v_fma_f64 v[78:79], s[2:3], v[52:53], v[26:27]
	v_fmac_f64_e32 v[26:27], s[6:7], v[52:53]
	v_add_f64 v[52:53], v[126:127], v[130:131]
	v_add_f64 v[64:65], v[52:53], v[134:135]
	;; [unrolled: 1-line block ×3, first 2 shown]
	v_fmac_f64_e32 v[126:127], -0.5, v[52:53]
	v_add_f64 v[52:53], v[66:67], -v[70:71]
	v_add_f64 v[34:35], v[58:59], v[46:47]
	v_add_f64 v[46:47], v[58:59], -v[46:47]
	v_fma_f64 v[58:59], s[6:7], v[52:53], v[126:127]
	v_fmac_f64_e32 v[126:127], s[2:3], v[52:53]
	v_add_f64 v[52:53], v[62:63], v[66:67]
	v_add_f64 v[80:81], v[52:53], v[70:71]
	v_add_f64 v[52:53], v[66:67], v[70:71]
	v_fmac_f64_e32 v[62:63], -0.5, v[52:53]
	v_add_f64 v[52:53], v[130:131], -v[134:135]
	v_fma_f64 v[66:67], s[2:3], v[52:53], v[62:63]
	v_mul_f64 v[68:69], v[66:67], s[6:7]
	v_fmac_f64_e32 v[56:57], -0.5, v[112:113]
	v_fmac_f64_e32 v[62:63], s[6:7], v[52:53]
	v_add_f64 v[52:53], v[72:73], v[64:65]
	v_fmac_f64_e32 v[68:69], 0.5, v[58:59]
	v_add_f64 v[64:65], v[72:73], -v[64:65]
	v_mov_b32_e32 v73, 4
	v_add_f64 v[44:45], v[44:45], v[124:125]
	v_add_f64 v[40:41], v[28:29], v[56:57]
	v_add_f64 v[28:29], v[28:29], -v[56:57]
	v_add_f64 v[56:57], v[74:75], v[68:69]
	v_add_f64 v[68:69], v[74:75], -v[68:69]
	v_mad_u32_u24 v72, v136, s8, 0
	v_lshlrev_b32_sdwa v74, v73, v137 dst_sel:DWORD dst_unused:UNUSED_PAD src0_sel:DWORD src1_sel:BYTE_0
	v_add_f64 v[32:33], v[54:55], v[44:45]
	v_add3_u32 v72, v72, v74, v229
	v_add_f64 v[44:45], v[54:55], -v[44:45]
	v_mul_f64 v[70:71], v[62:63], s[6:7]
	v_mul_f64 v[82:83], v[66:67], 0.5
	v_mul_f64 v[84:85], v[62:63], -0.5
	ds_write_b128 v72, v[32:35]
	ds_write_b128 v72, v[36:39] offset:272
	ds_write_b128 v72, v[40:43] offset:544
	;; [unrolled: 1-line block ×5, first 2 shown]
	v_mad_u32_u24 v28, v138, s8, 0
	v_lshlrev_b32_sdwa v29, v73, v139 dst_sel:DWORD dst_unused:UNUSED_PAD src0_sel:DWORD src1_sel:BYTE_0
	v_fmac_f64_e32 v[70:71], -0.5, v[126:127]
	v_add_f64 v[54:55], v[76:77], v[80:81]
	v_fmac_f64_e32 v[82:83], s[2:3], v[58:59]
	v_fmac_f64_e32 v[84:85], s[2:3], v[126:127]
	v_add3_u32 v28, v28, v29, v229
	v_add_f64 v[60:61], v[24:25], v[70:71]
	v_add_f64 v[58:59], v[78:79], v[82:83]
	;; [unrolled: 1-line block ×3, first 2 shown]
	v_add_f64 v[24:25], v[24:25], -v[70:71]
	v_add_f64 v[66:67], v[76:77], -v[80:81]
	;; [unrolled: 1-line block ×4, first 2 shown]
	ds_write_b128 v28, v[52:55]
	ds_write_b128 v28, v[56:59] offset:272
	ds_write_b128 v28, v[60:63] offset:544
	;; [unrolled: 1-line block ×5, first 2 shown]
	s_and_saveexec_b64 s[8:9], vcc
	s_cbranch_execz .LBB0_25
; %bb.24:
	v_add_u32_e32 v24, 0xcc, v122
	s_mov_b32 s10, 0xf0f1
	v_mul_u32_u24_sdwa v25, v24, s10 dst_sel:DWORD dst_unused:UNUSED_PAD src0_sel:WORD_0 src1_sel:DWORD
	v_lshrrev_b32_e32 v25, 20, v25
	v_mul_lo_u16_e32 v25, 17, v25
	v_sub_u16_e32 v44, v24, v25
	v_mul_u32_u24_e32 v24, 5, v44
	v_lshlrev_b32_e32 v45, 4, v24
	global_load_dwordx4 v[24:27], v45, s[4:5] offset:16
	global_load_dwordx4 v[28:31], v45, s[4:5] offset:48
	;; [unrolled: 1-line block ×4, first 2 shown]
	global_load_dwordx4 v[40:43], v45, s[4:5]
	v_lshlrev_b32_e32 v44, 4, v44
	v_add3_u32 v54, 0, v44, v229
	s_waitcnt vmcnt(4)
	v_mul_f64 v[44:45], v[8:9], v[26:27]
	s_waitcnt vmcnt(3)
	v_mul_f64 v[46:47], v[0:1], v[30:31]
	v_mul_f64 v[30:31], v[2:3], v[30:31]
	s_waitcnt vmcnt(2)
	v_mul_f64 v[48:49], v[4:5], v[34:35]
	s_waitcnt vmcnt(1)
	v_mul_f64 v[50:51], v[20:21], v[38:39]
	v_mul_f64 v[34:35], v[6:7], v[34:35]
	;; [unrolled: 1-line block ×4, first 2 shown]
	s_waitcnt vmcnt(0)
	v_mul_f64 v[52:53], v[14:15], v[42:43]
	v_mul_f64 v[42:43], v[12:13], v[42:43]
	v_fma_f64 v[10:11], v[10:11], v[24:25], -v[44:45]
	v_fma_f64 v[2:3], v[2:3], v[28:29], -v[46:47]
	v_fmac_f64_e32 v[30:31], v[0:1], v[28:29]
	v_fma_f64 v[0:1], v[6:7], v[32:33], -v[48:49]
	v_fma_f64 v[6:7], v[22:23], v[36:37], -v[50:51]
	v_fmac_f64_e32 v[34:35], v[4:5], v[32:33]
	v_fmac_f64_e32 v[38:39], v[20:21], v[36:37]
	;; [unrolled: 1-line block ×4, first 2 shown]
	v_fma_f64 v[4:5], v[14:15], v[40:41], -v[42:43]
	v_add_f64 v[8:9], v[10:11], v[2:3]
	v_add_f64 v[20:21], v[34:35], v[38:39]
	;; [unrolled: 1-line block ×3, first 2 shown]
	v_add_f64 v[12:13], v[26:27], -v[30:31]
	v_add_f64 v[14:15], v[0:1], -v[6:7]
	;; [unrolled: 1-line block ×3, first 2 shown]
	v_add_f64 v[28:29], v[18:19], v[10:11]
	v_add_f64 v[0:1], v[4:5], v[0:1]
	;; [unrolled: 1-line block ×5, first 2 shown]
	v_fma_f64 v[8:9], -0.5, v[8:9], v[18:19]
	v_fma_f64 v[18:19], -0.5, v[20:21], v[52:53]
	;; [unrolled: 1-line block ×3, first 2 shown]
	v_add_f64 v[4:5], v[28:29], v[2:3]
	v_add_f64 v[6:7], v[0:1], v[6:7]
	v_fma_f64 v[16:17], -0.5, v[32:33], v[16:17]
	v_add_f64 v[22:23], v[26:27], v[30:31]
	v_add_f64 v[26:27], v[34:35], v[38:39]
	v_fma_f64 v[32:33], s[6:7], v[24:25], v[20:21]
	v_fmac_f64_e32 v[20:21], s[2:3], v[24:25]
	v_add_f64 v[10:11], v[10:11], -v[2:3]
	v_fma_f64 v[30:31], s[2:3], v[14:15], v[18:19]
	v_fmac_f64_e32 v[18:19], s[6:7], v[14:15]
	v_add_f64 v[2:3], v[4:5], -v[6:7]
	v_add_f64 v[0:1], v[22:23], -v[26:27]
	v_add_f64 v[6:7], v[4:5], v[6:7]
	v_add_f64 v[4:5], v[22:23], v[26:27]
	v_mul_f64 v[14:15], v[20:21], 0.5
	v_mul_f64 v[22:23], v[32:33], s[6:7]
	v_mul_f64 v[20:21], v[20:21], s[6:7]
	v_fma_f64 v[28:29], s[6:7], v[12:13], v[8:9]
	v_fmac_f64_e32 v[8:9], s[2:3], v[12:13]
	v_fma_f64 v[12:13], s[2:3], v[10:11], v[16:17]
	v_fmac_f64_e32 v[16:17], s[6:7], v[10:11]
	v_mul_f64 v[10:11], v[32:33], -0.5
	v_fmac_f64_e32 v[14:15], s[2:3], v[18:19]
	v_fmac_f64_e32 v[22:23], -0.5, v[30:31]
	v_fmac_f64_e32 v[20:21], 0.5, v[18:19]
	ds_write_b128 v54, v[4:7] offset:19584
	ds_write_b128 v54, v[0:3] offset:20400
	v_fmac_f64_e32 v[10:11], s[2:3], v[30:31]
	v_add_f64 v[6:7], v[8:9], -v[14:15]
	v_add_f64 v[0:1], v[12:13], -v[22:23]
	v_add_f64 v[14:15], v[8:9], v[14:15]
	v_add_f64 v[8:9], v[12:13], v[22:23]
	v_add_f64 v[12:13], v[16:17], v[20:21]
	v_add_f64 v[2:3], v[28:29], -v[10:11]
	v_add_f64 v[4:5], v[16:17], -v[20:21]
	v_add_f64 v[10:11], v[28:29], v[10:11]
	ds_write_b128 v54, v[12:15] offset:19856
	ds_write_b128 v54, v[8:11] offset:20128
	;; [unrolled: 1-line block ×4, first 2 shown]
.LBB0_25:
	s_or_b64 exec, exec, s[8:9]
	v_mul_u32_u24_e32 v0, 12, v122
	v_lshlrev_b32_e32 v4, 4, v0
	s_waitcnt lgkmcnt(0)
	s_barrier
	global_load_dwordx4 v[0:3], v4, s[4:5] offset:1360
	global_load_dwordx4 v[12:15], v4, s[4:5] offset:1376
	;; [unrolled: 1-line block ×12, first 2 shown]
	ds_read_b128 v[4:7], v228
	ds_read_b128 v[70:73], v123 offset:1632
	ds_read_b128 v[74:77], v123 offset:3264
	;; [unrolled: 1-line block ×12, first 2 shown]
	s_mov_b32 s14, 0x4267c47c
	s_mov_b32 s8, 0x42a4c3d2
	;; [unrolled: 1-line block ×36, first 2 shown]
	s_waitcnt lgkmcnt(0)
	s_barrier
	s_waitcnt vmcnt(11)
	v_mul_f64 v[118:119], v[72:73], v[2:3]
	v_mul_f64 v[2:3], v[70:71], v[2:3]
	s_waitcnt vmcnt(10)
	v_mul_f64 v[124:125], v[76:77], v[14:15]
	v_mul_f64 v[14:15], v[74:75], v[14:15]
	v_fmac_f64_e32 v[118:119], v[70:71], v[0:1]
	v_fma_f64 v[70:71], v[72:73], v[0:1], -v[2:3]
	s_waitcnt vmcnt(9)
	v_mul_f64 v[32:33], v[80:81], v[22:23]
	v_mul_f64 v[22:23], v[78:79], v[22:23]
	v_fma_f64 v[72:73], v[76:77], v[12:13], -v[14:15]
	v_add_f64 v[2:3], v[6:7], v[70:71]
	s_waitcnt vmcnt(8)
	v_mul_f64 v[24:25], v[84:85], v[30:31]
	v_mul_f64 v[30:31], v[82:83], v[30:31]
	v_fma_f64 v[36:37], v[80:81], v[20:21], -v[22:23]
	v_add_f64 v[2:3], v[2:3], v[72:73]
	s_waitcnt vmcnt(7)
	v_mul_f64 v[16:17], v[88:89], v[40:41]
	v_mul_f64 v[40:41], v[86:87], v[40:41]
	v_fmac_f64_e32 v[24:25], v[82:83], v[28:29]
	v_fma_f64 v[28:29], v[84:85], v[28:29], -v[30:31]
	v_add_f64 v[2:3], v[2:3], v[36:37]
	s_waitcnt vmcnt(6)
	v_mul_f64 v[8:9], v[92:93], v[44:45]
	v_mul_f64 v[44:45], v[90:91], v[44:45]
	v_fmac_f64_e32 v[32:33], v[78:79], v[20:21]
	;; [unrolled: 6-line block ×3, first 2 shown]
	v_fma_f64 v[12:13], v[92:93], v[42:43], -v[44:45]
	v_add_f64 v[2:3], v[2:3], v[20:21]
	s_waitcnt vmcnt(4)
	v_mul_f64 v[18:19], v[100:101], v[52:53]
	v_mul_f64 v[52:53], v[98:99], v[52:53]
	v_fma_f64 v[14:15], v[96:97], v[46:47], -v[48:49]
	v_add_f64 v[2:3], v[2:3], v[12:13]
	s_waitcnt vmcnt(3)
	v_mul_f64 v[26:27], v[104:105], v[56:57]
	v_mul_f64 v[56:57], v[102:103], v[56:57]
	;; [unrolled: 5-line block ×4, first 2 shown]
	v_fmac_f64_e32 v[16:17], v[86:87], v[38:39]
	v_fma_f64 v[38:39], v[108:109], v[58:59], -v[60:61]
	v_add_f64 v[2:3], v[2:3], v[30:31]
	s_waitcnt vmcnt(0)
	v_mul_f64 v[128:129], v[116:117], v[68:69]
	v_mul_f64 v[68:69], v[114:115], v[68:69]
	v_fma_f64 v[40:41], v[112:113], v[62:63], -v[64:65]
	v_add_f64 v[2:3], v[2:3], v[38:39]
	v_fmac_f64_e32 v[8:9], v[90:91], v[42:43]
	v_fma_f64 v[42:43], v[116:117], v[66:67], -v[68:69]
	v_add_f64 v[2:3], v[2:3], v[40:41]
	v_fmac_f64_e32 v[10:11], v[94:95], v[46:47]
	v_fmac_f64_e32 v[128:129], v[114:115], v[66:67]
	v_add_f64 v[2:3], v[2:3], v[42:43]
	v_add_f64 v[46:47], v[70:71], v[42:43]
	v_add_f64 v[42:43], v[70:71], -v[42:43]
	v_fmac_f64_e32 v[18:19], v[98:99], v[50:51]
	v_fmac_f64_e32 v[34:35], v[106:107], v[58:59]
	v_add_f64 v[44:45], v[118:119], v[128:129]
	v_mul_f64 v[50:51], v[42:43], s[14:15]
	v_mul_f64 v[58:59], v[42:43], s[8:9]
	;; [unrolled: 1-line block ×6, first 2 shown]
	v_fmac_f64_e32 v[26:27], v[102:103], v[54:55]
	v_fmac_f64_e32 v[126:127], v[110:111], v[62:63]
	v_add_f64 v[48:49], v[118:119], -v[128:129]
	v_fma_f64 v[52:53], s[16:17], v[44:45], v[50:51]
	v_mul_f64 v[54:55], v[46:47], s[16:17]
	v_fma_f64 v[50:51], v[44:45], s[16:17], -v[50:51]
	v_fma_f64 v[60:61], s[10:11], v[44:45], v[58:59]
	v_mul_f64 v[62:63], v[46:47], s[10:11]
	v_fma_f64 v[58:59], v[44:45], s[10:11], -v[58:59]
	;; [unrolled: 3-line block ×6, first 2 shown]
	v_add_f64 v[44:45], v[72:73], v[40:41]
	v_add_f64 v[40:41], v[72:73], -v[40:41]
	v_add_f64 v[0:1], v[4:5], v[118:119]
	v_add_f64 v[52:53], v[4:5], v[52:53]
	v_fma_f64 v[56:57], s[18:19], v[48:49], v[54:55]
	v_add_f64 v[50:51], v[4:5], v[50:51]
	v_fmac_f64_e32 v[54:55], s[14:15], v[48:49]
	v_add_f64 v[60:61], v[4:5], v[60:61]
	v_fma_f64 v[64:65], s[12:13], v[48:49], v[62:63]
	v_add_f64 v[58:59], v[4:5], v[58:59]
	v_fmac_f64_e32 v[62:63], s[8:9], v[48:49]
	;; [unrolled: 4-line block ×6, first 2 shown]
	v_add_f64 v[42:43], v[124:125], v[126:127]
	v_mul_f64 v[48:49], v[40:41], s[8:9]
	v_fma_f64 v[72:73], s[10:11], v[42:43], v[48:49]
	v_add_f64 v[56:57], v[6:7], v[56:57]
	v_add_f64 v[54:55], v[6:7], v[54:55]
	;; [unrolled: 1-line block ×12, first 2 shown]
	v_add_f64 v[46:47], v[124:125], -v[126:127]
	v_add_f64 v[52:53], v[72:73], v[52:53]
	v_mul_f64 v[72:73], v[44:45], s[10:11]
	v_fma_f64 v[96:97], s[12:13], v[46:47], v[72:73]
	v_fma_f64 v[48:49], v[42:43], s[10:11], -v[48:49]
	v_fmac_f64_e32 v[72:73], s[8:9], v[46:47]
	v_add_f64 v[48:49], v[48:49], v[50:51]
	v_add_f64 v[50:51], v[72:73], v[54:55]
	v_mul_f64 v[54:55], v[40:41], s[20:21]
	v_fma_f64 v[72:73], s[22:23], v[42:43], v[54:55]
	v_add_f64 v[60:61], v[72:73], v[60:61]
	v_mul_f64 v[72:73], v[44:45], s[22:23]
	v_add_f64 v[56:57], v[96:97], v[56:57]
	v_fma_f64 v[96:97], s[24:25], v[46:47], v[72:73]
	v_fma_f64 v[54:55], v[42:43], s[22:23], -v[54:55]
	v_fmac_f64_e32 v[72:73], s[20:21], v[46:47]
	v_add_f64 v[54:55], v[54:55], v[58:59]
	v_add_f64 v[58:59], v[72:73], v[62:63]
	v_mul_f64 v[62:63], v[40:41], s[34:35]
	v_fma_f64 v[72:73], s[36:37], v[42:43], v[62:63]
	v_add_f64 v[68:69], v[72:73], v[68:69]
	v_mul_f64 v[72:73], v[44:45], s[36:37]
	v_add_f64 v[64:65], v[96:97], v[64:65]
	v_fma_f64 v[96:97], s[38:39], v[46:47], v[72:73]
	v_fma_f64 v[62:63], v[42:43], s[36:37], -v[62:63]
	v_fmac_f64_e32 v[72:73], s[34:35], v[46:47]
	v_add_f64 v[62:63], v[62:63], v[66:67]
	v_add_f64 v[66:67], v[72:73], v[70:71]
	v_mul_f64 v[70:71], v[40:41], s[30:31]
	v_add_f64 v[0:1], v[0:1], v[124:125]
	v_fma_f64 v[72:73], s[28:29], v[42:43], v[70:71]
	v_add_f64 v[0:1], v[0:1], v[32:33]
	v_add_f64 v[72:73], v[72:73], v[78:79]
	v_mul_f64 v[78:79], v[44:45], s[28:29]
	v_add_f64 v[0:1], v[0:1], v[24:25]
	v_add_f64 v[74:75], v[96:97], v[74:75]
	v_fma_f64 v[96:97], s[26:27], v[46:47], v[78:79]
	v_fma_f64 v[70:71], v[42:43], s[28:29], -v[70:71]
	v_fmac_f64_e32 v[78:79], s[30:31], v[46:47]
	v_add_f64 v[0:1], v[0:1], v[16:17]
	v_add_f64 v[70:71], v[70:71], v[76:77]
	;; [unrolled: 1-line block ×3, first 2 shown]
	v_mul_f64 v[78:79], v[40:41], s[6:7]
	v_add_f64 v[0:1], v[0:1], v[8:9]
	v_fma_f64 v[80:81], s[4:5], v[42:43], v[78:79]
	v_add_f64 v[0:1], v[0:1], v[10:11]
	v_add_f64 v[80:81], v[80:81], v[86:87]
	v_mul_f64 v[86:87], v[44:45], s[4:5]
	v_add_f64 v[0:1], v[0:1], v[18:19]
	v_add_f64 v[82:83], v[96:97], v[82:83]
	v_fma_f64 v[96:97], s[2:3], v[46:47], v[86:87]
	v_fma_f64 v[78:79], v[42:43], s[4:5], -v[78:79]
	v_fmac_f64_e32 v[86:87], s[6:7], v[46:47]
	v_mul_f64 v[40:41], v[40:41], s[18:19]
	v_add_f64 v[0:1], v[0:1], v[26:27]
	v_add_f64 v[78:79], v[78:79], v[84:85]
	;; [unrolled: 1-line block ×3, first 2 shown]
	v_fma_f64 v[86:87], s[16:17], v[42:43], v[40:41]
	v_fma_f64 v[40:41], v[42:43], s[16:17], -v[40:41]
	v_add_f64 v[0:1], v[0:1], v[34:35]
	v_mul_f64 v[44:45], v[44:45], s[16:17]
	v_add_f64 v[4:5], v[40:41], v[4:5]
	v_add_f64 v[40:41], v[32:33], v[34:35]
	v_add_f64 v[32:33], v[32:33], -v[34:35]
	v_add_f64 v[34:35], v[36:37], -v[38:39]
	v_fma_f64 v[88:89], s[14:15], v[46:47], v[44:45]
	v_fmac_f64_e32 v[44:45], s[18:19], v[46:47]
	v_add_f64 v[42:43], v[36:37], v[38:39]
	v_mul_f64 v[36:37], v[34:35], s[2:3]
	v_add_f64 v[6:7], v[44:45], v[6:7]
	v_fma_f64 v[38:39], s[4:5], v[40:41], v[36:37]
	v_mul_f64 v[44:45], v[42:43], s[4:5]
	v_fma_f64 v[36:37], v[40:41], s[4:5], -v[36:37]
	v_fma_f64 v[46:47], s[6:7], v[32:33], v[44:45]
	v_add_f64 v[36:37], v[36:37], v[48:49]
	v_fmac_f64_e32 v[44:45], s[2:3], v[32:33]
	v_mul_f64 v[48:49], v[34:35], s[34:35]
	v_add_f64 v[38:39], v[38:39], v[52:53]
	v_add_f64 v[44:45], v[44:45], v[50:51]
	v_fma_f64 v[50:51], s[36:37], v[40:41], v[48:49]
	v_mul_f64 v[52:53], v[42:43], s[36:37]
	v_fma_f64 v[48:49], v[40:41], s[36:37], -v[48:49]
	v_add_f64 v[46:47], v[46:47], v[56:57]
	v_fma_f64 v[56:57], s[38:39], v[32:33], v[52:53]
	v_add_f64 v[48:49], v[48:49], v[54:55]
	v_fmac_f64_e32 v[52:53], s[34:35], v[32:33]
	v_mul_f64 v[54:55], v[34:35], s[24:25]
	v_add_f64 v[50:51], v[50:51], v[60:61]
	v_add_f64 v[52:53], v[52:53], v[58:59]
	v_fma_f64 v[58:59], s[22:23], v[40:41], v[54:55]
	v_mul_f64 v[60:61], v[42:43], s[22:23]
	v_fma_f64 v[54:55], v[40:41], s[22:23], -v[54:55]
	v_add_f64 v[56:57], v[56:57], v[64:65]
	;; [unrolled: 10-line block ×3, first 2 shown]
	v_fma_f64 v[72:73], s[14:15], v[32:33], v[68:69]
	v_add_f64 v[62:63], v[62:63], v[70:71]
	v_fmac_f64_e32 v[68:69], s[18:19], v[32:33]
	v_mul_f64 v[70:71], v[34:35], s[8:9]
	v_add_f64 v[64:65], v[64:65], v[74:75]
	v_add_f64 v[68:69], v[68:69], v[76:77]
	v_fma_f64 v[74:75], s[10:11], v[40:41], v[70:71]
	v_mul_f64 v[76:77], v[42:43], s[10:11]
	v_fma_f64 v[70:71], v[40:41], s[10:11], -v[70:71]
	v_mul_f64 v[34:35], v[34:35], s[26:27]
	v_mul_f64 v[42:43], v[42:43], s[28:29]
	v_add_f64 v[72:73], v[72:73], v[82:83]
	v_add_f64 v[74:75], v[74:75], v[80:81]
	v_fma_f64 v[80:81], s[12:13], v[32:33], v[76:77]
	v_add_f64 v[70:71], v[70:71], v[78:79]
	v_fmac_f64_e32 v[76:77], s[8:9], v[32:33]
	v_fma_f64 v[78:79], s[28:29], v[40:41], v[34:35]
	v_fma_f64 v[82:83], s[30:31], v[32:33], v[42:43]
	v_fma_f64 v[34:35], v[40:41], s[28:29], -v[34:35]
	v_fmac_f64_e32 v[42:43], s[26:27], v[32:33]
	v_add_f64 v[32:33], v[24:25], v[26:27]
	v_add_f64 v[24:25], v[24:25], -v[26:27]
	v_add_f64 v[26:27], v[28:29], -v[30:31]
	v_add_f64 v[4:5], v[34:35], v[4:5]
	v_add_f64 v[34:35], v[28:29], v[30:31]
	v_mul_f64 v[28:29], v[26:27], s[20:21]
	v_fma_f64 v[30:31], s[22:23], v[32:33], v[28:29]
	v_add_f64 v[30:31], v[30:31], v[38:39]
	v_mul_f64 v[38:39], v[34:35], s[22:23]
	v_fma_f64 v[40:41], s[24:25], v[24:25], v[38:39]
	v_fma_f64 v[28:29], v[32:33], s[22:23], -v[28:29]
	v_fmac_f64_e32 v[38:39], s[20:21], v[24:25]
	v_add_f64 v[28:29], v[28:29], v[36:37]
	v_add_f64 v[36:37], v[38:39], v[44:45]
	v_mul_f64 v[38:39], v[26:27], s[30:31]
	v_add_f64 v[6:7], v[42:43], v[6:7]
	v_fma_f64 v[42:43], s[28:29], v[32:33], v[38:39]
	v_mul_f64 v[44:45], v[34:35], s[28:29]
	v_fma_f64 v[38:39], v[32:33], s[28:29], -v[38:39]
	v_add_f64 v[40:41], v[40:41], v[46:47]
	v_fma_f64 v[46:47], s[26:27], v[24:25], v[44:45]
	v_add_f64 v[38:39], v[38:39], v[48:49]
	v_fmac_f64_e32 v[44:45], s[30:31], v[24:25]
	v_mul_f64 v[48:49], v[26:27], s[18:19]
	v_add_f64 v[42:43], v[42:43], v[50:51]
	v_add_f64 v[44:45], v[44:45], v[52:53]
	v_fma_f64 v[50:51], s[16:17], v[32:33], v[48:49]
	v_mul_f64 v[52:53], v[34:35], s[16:17]
	v_fma_f64 v[48:49], v[32:33], s[16:17], -v[48:49]
	v_add_f64 v[46:47], v[46:47], v[56:57]
	v_fma_f64 v[56:57], s[14:15], v[24:25], v[52:53]
	v_add_f64 v[48:49], v[48:49], v[54:55]
	v_fmac_f64_e32 v[52:53], s[18:19], v[24:25]
	v_mul_f64 v[54:55], v[26:27], s[2:3]
	v_add_f64 v[50:51], v[50:51], v[58:59]
	;; [unrolled: 10-line block ×3, first 2 shown]
	v_add_f64 v[60:61], v[60:61], v[68:69]
	v_fma_f64 v[66:67], s[36:37], v[32:33], v[62:63]
	v_mul_f64 v[68:69], v[34:35], s[36:37]
	v_fma_f64 v[62:63], v[32:33], s[36:37], -v[62:63]
	v_mul_f64 v[26:27], v[26:27], s[12:13]
	v_mul_f64 v[34:35], v[34:35], s[10:11]
	v_add_f64 v[64:65], v[64:65], v[72:73]
	v_add_f64 v[66:67], v[66:67], v[74:75]
	v_fma_f64 v[72:73], s[34:35], v[24:25], v[68:69]
	v_add_f64 v[62:63], v[62:63], v[70:71]
	v_fmac_f64_e32 v[68:69], s[38:39], v[24:25]
	v_fma_f64 v[70:71], s[10:11], v[32:33], v[26:27]
	v_fma_f64 v[74:75], s[8:9], v[24:25], v[34:35]
	v_fma_f64 v[26:27], v[32:33], s[10:11], -v[26:27]
	v_fmac_f64_e32 v[34:35], s[12:13], v[24:25]
	v_add_f64 v[24:25], v[16:17], v[18:19]
	v_add_f64 v[16:17], v[16:17], -v[18:19]
	v_add_f64 v[18:19], v[20:21], -v[22:23]
	v_add_f64 v[4:5], v[26:27], v[4:5]
	v_add_f64 v[26:27], v[20:21], v[22:23]
	v_mul_f64 v[20:21], v[18:19], s[26:27]
	v_fma_f64 v[22:23], s[28:29], v[24:25], v[20:21]
	v_add_f64 v[22:23], v[22:23], v[30:31]
	v_mul_f64 v[30:31], v[26:27], s[28:29]
	v_fma_f64 v[32:33], s[30:31], v[16:17], v[30:31]
	v_fma_f64 v[20:21], v[24:25], s[28:29], -v[20:21]
	v_fmac_f64_e32 v[30:31], s[26:27], v[16:17]
	v_add_f64 v[20:21], v[20:21], v[28:29]
	v_add_f64 v[28:29], v[30:31], v[36:37]
	v_mul_f64 v[30:31], v[18:19], s[6:7]
	v_add_f64 v[6:7], v[34:35], v[6:7]
	v_fma_f64 v[34:35], s[4:5], v[24:25], v[30:31]
	v_mul_f64 v[36:37], v[26:27], s[4:5]
	v_fma_f64 v[30:31], v[24:25], s[4:5], -v[30:31]
	v_add_f64 v[32:33], v[32:33], v[40:41]
	v_fma_f64 v[40:41], s[2:3], v[16:17], v[36:37]
	v_add_f64 v[30:31], v[30:31], v[38:39]
	v_fmac_f64_e32 v[36:37], s[6:7], v[16:17]
	v_mul_f64 v[38:39], v[18:19], s[8:9]
	v_add_f64 v[34:35], v[34:35], v[42:43]
	v_add_f64 v[36:37], v[36:37], v[44:45]
	v_fma_f64 v[42:43], s[10:11], v[24:25], v[38:39]
	v_mul_f64 v[44:45], v[26:27], s[10:11]
	v_fma_f64 v[38:39], v[24:25], s[10:11], -v[38:39]
	v_add_f64 v[40:41], v[40:41], v[46:47]
	v_fma_f64 v[46:47], s[12:13], v[16:17], v[44:45]
	v_add_f64 v[38:39], v[38:39], v[48:49]
	v_fmac_f64_e32 v[44:45], s[8:9], v[16:17]
	v_mul_f64 v[48:49], v[18:19], s[38:39]
	v_add_f64 v[42:43], v[42:43], v[50:51]
	v_add_f64 v[44:45], v[44:45], v[52:53]
	v_fma_f64 v[50:51], s[36:37], v[24:25], v[48:49]
	v_mul_f64 v[52:53], v[26:27], s[36:37]
	v_fma_f64 v[48:49], v[24:25], s[36:37], -v[48:49]
	v_add_f64 v[88:89], v[88:89], v[94:95]
	v_add_f64 v[46:47], v[46:47], v[56:57]
	v_fma_f64 v[56:57], s[34:35], v[16:17], v[52:53]
	v_add_f64 v[48:49], v[48:49], v[54:55]
	v_fmac_f64_e32 v[52:53], s[38:39], v[16:17]
	v_mul_f64 v[54:55], v[18:19], s[18:19]
	v_add_f64 v[90:91], v[96:97], v[90:91]
	v_add_f64 v[82:83], v[82:83], v[88:89]
	;; [unrolled: 1-line block ×4, first 2 shown]
	v_fma_f64 v[58:59], s[16:17], v[24:25], v[54:55]
	v_mul_f64 v[60:61], v[26:27], s[16:17]
	v_mul_f64 v[26:27], v[26:27], s[22:23]
	v_add_f64 v[86:87], v[86:87], v[92:93]
	v_add_f64 v[80:81], v[80:81], v[90:91]
	v_add_f64 v[74:75], v[74:75], v[82:83]
	v_add_f64 v[58:59], v[58:59], v[66:67]
	v_fma_f64 v[66:67], s[24:25], v[16:17], v[26:27]
	v_add_f64 v[76:77], v[76:77], v[84:85]
	v_add_f64 v[78:79], v[78:79], v[86:87]
	;; [unrolled: 1-line block ×4, first 2 shown]
	v_fma_f64 v[64:65], s[14:15], v[16:17], v[60:61]
	v_fma_f64 v[54:55], v[24:25], s[16:17], -v[54:55]
	v_mul_f64 v[18:19], v[18:19], s[20:21]
	v_add_f64 v[66:67], v[66:67], v[74:75]
	v_add_f64 v[74:75], v[12:13], v[14:15]
	;; [unrolled: 1-line block ×6, first 2 shown]
	v_fma_f64 v[62:63], s[22:23], v[24:25], v[18:19]
	v_fmac_f64_e32 v[26:27], s[20:21], v[16:17]
	v_add_f64 v[72:73], v[8:9], v[10:11]
	v_add_f64 v[76:77], v[8:9], -v[10:11]
	v_add_f64 v[78:79], v[12:13], -v[14:15]
	v_mul_f64 v[10:11], v[74:75], s[36:37]
	v_fmac_f64_e32 v[60:61], s[18:19], v[16:17]
	v_add_f64 v[62:63], v[62:63], v[70:71]
	v_fma_f64 v[18:19], v[24:25], s[22:23], -v[18:19]
	v_add_f64 v[70:71], v[26:27], v[6:7]
	v_mul_f64 v[8:9], v[78:79], s[34:35]
	v_fma_f64 v[6:7], s[38:39], v[76:77], v[10:11]
	v_add_f64 v[60:61], v[60:61], v[68:69]
	v_add_f64 v[68:69], v[18:19], v[4:5]
	v_fma_f64 v[4:5], s[36:37], v[72:73], v[8:9]
	v_add_f64 v[6:7], v[6:7], v[32:33]
	v_fma_f64 v[8:9], v[72:73], s[36:37], -v[8:9]
	v_fmac_f64_e32 v[10:11], s[34:35], v[76:77]
	v_mul_f64 v[16:17], v[78:79], s[18:19]
	v_mul_f64 v[18:19], v[74:75], s[16:17]
	v_mul_f64 v[24:25], v[78:79], s[26:27]
	v_mul_f64 v[32:33], v[78:79], s[12:13]
	v_add_f64 v[8:9], v[8:9], v[20:21]
	v_add_f64 v[10:11], v[10:11], v[28:29]
	v_fma_f64 v[12:13], s[16:17], v[72:73], v[16:17]
	v_fma_f64 v[14:15], s[14:15], v[76:77], v[18:19]
	;; [unrolled: 1-line block ×3, first 2 shown]
	v_mul_f64 v[26:27], v[74:75], s[28:29]
	v_fma_f64 v[28:29], s[10:11], v[72:73], v[32:33]
	v_fma_f64 v[32:33], v[72:73], s[10:11], -v[32:33]
	v_add_f64 v[0:1], v[0:1], v[126:127]
	v_add_f64 v[4:5], v[4:5], v[22:23]
	;; [unrolled: 1-line block ×4, first 2 shown]
	v_fma_f64 v[16:17], v[72:73], s[16:17], -v[16:17]
	v_fmac_f64_e32 v[18:19], s[18:19], v[76:77]
	v_add_f64 v[20:21], v[20:21], v[42:43]
	v_fma_f64 v[22:23], s[30:31], v[76:77], v[26:27]
	v_fma_f64 v[24:25], v[72:73], s[28:29], -v[24:25]
	v_fmac_f64_e32 v[26:27], s[26:27], v[76:77]
	v_add_f64 v[28:29], v[28:29], v[50:51]
	v_mul_f64 v[34:35], v[74:75], s[10:11]
	v_add_f64 v[32:33], v[32:33], v[48:49]
	v_mul_f64 v[40:41], v[78:79], s[20:21]
	v_mul_f64 v[42:43], v[74:75], s[22:23]
	;; [unrolled: 1-line block ×4, first 2 shown]
	v_add_f64 v[0:1], v[0:1], v[128:129]
	v_add_f64 v[16:17], v[16:17], v[30:31]
	;; [unrolled: 1-line block ×6, first 2 shown]
	v_fma_f64 v[30:31], s[8:9], v[76:77], v[34:35]
	v_fmac_f64_e32 v[34:35], s[12:13], v[76:77]
	v_fma_f64 v[36:37], s[22:23], v[72:73], v[40:41]
	v_fma_f64 v[38:39], s[24:25], v[76:77], v[42:43]
	v_fma_f64 v[40:41], v[72:73], s[22:23], -v[40:41]
	v_fmac_f64_e32 v[42:43], s[20:21], v[76:77]
	v_fma_f64 v[44:45], s[4:5], v[72:73], v[48:49]
	v_fma_f64 v[46:47], s[2:3], v[76:77], v[50:51]
	v_fma_f64 v[48:49], v[72:73], s[4:5], -v[48:49]
	v_fmac_f64_e32 v[50:51], s[6:7], v[76:77]
	v_add_f64 v[30:31], v[30:31], v[56:57]
	v_add_f64 v[34:35], v[34:35], v[52:53]
	;; [unrolled: 1-line block ×10, first 2 shown]
	ds_write_b128 v123, v[0:3]
	ds_write_b128 v123, v[4:7] offset:1632
	ds_write_b128 v123, v[12:15] offset:3264
	;; [unrolled: 1-line block ×12, first 2 shown]
	s_waitcnt lgkmcnt(0)
	s_barrier
	s_and_saveexec_b64 s[2:3], s[0:1]
	s_cbranch_execz .LBB0_27
; %bb.26:
	v_lshl_add_u32 v12, v122, 4, v230
	ds_read_b128 v[0:3], v12
	ds_read_b128 v[4:7], v12 offset:1632
	v_mov_b32_e32 v123, 0
	v_add_u32_e32 v8, 0x66, v122
	v_lshl_add_u64 v[10:11], v[122:123], 4, v[120:121]
	v_mov_b32_e32 v9, v123
	s_waitcnt lgkmcnt(1)
	global_store_dwordx4 v[10:11], v[0:3], off
	s_nop 1
	v_lshl_add_u64 v[0:1], v[8:9], 4, v[120:121]
	s_waitcnt lgkmcnt(0)
	global_store_dwordx4 v[0:1], v[4:7], off
	ds_read_b128 v[0:3], v12 offset:3264
	s_nop 0
	v_add_u32_e32 v4, 0xcc, v122
	v_mov_b32_e32 v5, v123
	v_lshl_add_u64 v[8:9], v[4:5], 4, v[120:121]
	ds_read_b128 v[4:7], v12 offset:4896
	s_waitcnt lgkmcnt(1)
	global_store_dwordx4 v[8:9], v[0:3], off
	s_nop 1
	v_add_u32_e32 v0, 0x132, v122
	v_mov_b32_e32 v1, v123
	v_lshl_add_u64 v[0:1], v[0:1], 4, v[120:121]
	s_waitcnt lgkmcnt(0)
	global_store_dwordx4 v[0:1], v[4:7], off
	ds_read_b128 v[0:3], v12 offset:6528
	s_nop 0
	v_add_u32_e32 v4, 0x198, v122
	v_mov_b32_e32 v5, v123
	v_lshl_add_u64 v[8:9], v[4:5], 4, v[120:121]
	ds_read_b128 v[4:7], v12 offset:8160
	s_waitcnt lgkmcnt(1)
	global_store_dwordx4 v[8:9], v[0:3], off
	s_nop 1
	v_add_u32_e32 v0, 0x1fe, v122
	v_mov_b32_e32 v1, v123
	;; [unrolled: 14-line block ×4, first 2 shown]
	v_lshl_add_u64 v[0:1], v[0:1], 4, v[120:121]
	s_waitcnt lgkmcnt(0)
	global_store_dwordx4 v[0:1], v[4:7], off
	ds_read_b128 v[0:3], v12 offset:16320
	s_nop 0
	v_add_u32_e32 v4, 0x3fc, v122
	v_mov_b32_e32 v5, v123
	v_lshl_add_u64 v[8:9], v[4:5], 4, v[120:121]
	ds_read_b128 v[4:7], v12 offset:17952
	s_waitcnt lgkmcnt(1)
	global_store_dwordx4 v[8:9], v[0:3], off
	ds_read_b128 v[0:3], v12 offset:19584
	v_add_u32_e32 v8, 0x462, v122
	v_mov_b32_e32 v9, v123
	v_lshl_add_u64 v[8:9], v[8:9], 4, v[120:121]
	v_add_u32_e32 v122, 0x4c8, v122
	s_waitcnt lgkmcnt(1)
	global_store_dwordx4 v[8:9], v[4:7], off
	s_nop 1
	v_lshl_add_u64 v[4:5], v[122:123], 4, v[120:121]
	s_waitcnt lgkmcnt(0)
	global_store_dwordx4 v[4:5], v[0:3], off
.LBB0_27:
	s_endpgm
	.section	.rodata,"a",@progbits
	.p2align	6, 0x0
	.amdhsa_kernel fft_rtc_back_len1326_factors_17_6_13_wgs_204_tpt_102_halfLds_dp_ip_CI_unitstride_sbrr_C2R_dirReg
		.amdhsa_group_segment_fixed_size 0
		.amdhsa_private_segment_fixed_size 0
		.amdhsa_kernarg_size 88
		.amdhsa_user_sgpr_count 2
		.amdhsa_user_sgpr_dispatch_ptr 0
		.amdhsa_user_sgpr_queue_ptr 0
		.amdhsa_user_sgpr_kernarg_segment_ptr 1
		.amdhsa_user_sgpr_dispatch_id 0
		.amdhsa_user_sgpr_kernarg_preload_length 0
		.amdhsa_user_sgpr_kernarg_preload_offset 0
		.amdhsa_user_sgpr_private_segment_size 0
		.amdhsa_uses_dynamic_stack 0
		.amdhsa_enable_private_segment 0
		.amdhsa_system_sgpr_workgroup_id_x 1
		.amdhsa_system_sgpr_workgroup_id_y 0
		.amdhsa_system_sgpr_workgroup_id_z 0
		.amdhsa_system_sgpr_workgroup_info 0
		.amdhsa_system_vgpr_workitem_id 0
		.amdhsa_next_free_vgpr 368
		.amdhsa_next_free_sgpr 56
		.amdhsa_accum_offset 256
		.amdhsa_reserve_vcc 1
		.amdhsa_float_round_mode_32 0
		.amdhsa_float_round_mode_16_64 0
		.amdhsa_float_denorm_mode_32 3
		.amdhsa_float_denorm_mode_16_64 3
		.amdhsa_dx10_clamp 1
		.amdhsa_ieee_mode 1
		.amdhsa_fp16_overflow 0
		.amdhsa_tg_split 0
		.amdhsa_exception_fp_ieee_invalid_op 0
		.amdhsa_exception_fp_denorm_src 0
		.amdhsa_exception_fp_ieee_div_zero 0
		.amdhsa_exception_fp_ieee_overflow 0
		.amdhsa_exception_fp_ieee_underflow 0
		.amdhsa_exception_fp_ieee_inexact 0
		.amdhsa_exception_int_div_zero 0
	.end_amdhsa_kernel
	.text
.Lfunc_end0:
	.size	fft_rtc_back_len1326_factors_17_6_13_wgs_204_tpt_102_halfLds_dp_ip_CI_unitstride_sbrr_C2R_dirReg, .Lfunc_end0-fft_rtc_back_len1326_factors_17_6_13_wgs_204_tpt_102_halfLds_dp_ip_CI_unitstride_sbrr_C2R_dirReg
                                        ; -- End function
	.section	.AMDGPU.csdata,"",@progbits
; Kernel info:
; codeLenInByte = 18224
; NumSgprs: 62
; NumVgprs: 256
; NumAgprs: 112
; TotalNumVgprs: 368
; ScratchSize: 0
; MemoryBound: 0
; FloatMode: 240
; IeeeMode: 1
; LDSByteSize: 0 bytes/workgroup (compile time only)
; SGPRBlocks: 7
; VGPRBlocks: 45
; NumSGPRsForWavesPerEU: 62
; NumVGPRsForWavesPerEU: 368
; AccumOffset: 256
; Occupancy: 1
; WaveLimiterHint : 1
; COMPUTE_PGM_RSRC2:SCRATCH_EN: 0
; COMPUTE_PGM_RSRC2:USER_SGPR: 2
; COMPUTE_PGM_RSRC2:TRAP_HANDLER: 0
; COMPUTE_PGM_RSRC2:TGID_X_EN: 1
; COMPUTE_PGM_RSRC2:TGID_Y_EN: 0
; COMPUTE_PGM_RSRC2:TGID_Z_EN: 0
; COMPUTE_PGM_RSRC2:TIDIG_COMP_CNT: 0
; COMPUTE_PGM_RSRC3_GFX90A:ACCUM_OFFSET: 63
; COMPUTE_PGM_RSRC3_GFX90A:TG_SPLIT: 0
	.text
	.p2alignl 6, 3212836864
	.fill 256, 4, 3212836864
	.type	__hip_cuid_73f2dfd43fe9dc19,@object ; @__hip_cuid_73f2dfd43fe9dc19
	.section	.bss,"aw",@nobits
	.globl	__hip_cuid_73f2dfd43fe9dc19
__hip_cuid_73f2dfd43fe9dc19:
	.byte	0                               ; 0x0
	.size	__hip_cuid_73f2dfd43fe9dc19, 1

	.ident	"AMD clang version 19.0.0git (https://github.com/RadeonOpenCompute/llvm-project roc-6.4.0 25133 c7fe45cf4b819c5991fe208aaa96edf142730f1d)"
	.section	".note.GNU-stack","",@progbits
	.addrsig
	.addrsig_sym __hip_cuid_73f2dfd43fe9dc19
	.amdgpu_metadata
---
amdhsa.kernels:
  - .agpr_count:     112
    .args:
      - .actual_access:  read_only
        .address_space:  global
        .offset:         0
        .size:           8
        .value_kind:     global_buffer
      - .offset:         8
        .size:           8
        .value_kind:     by_value
      - .actual_access:  read_only
        .address_space:  global
        .offset:         16
        .size:           8
        .value_kind:     global_buffer
      - .actual_access:  read_only
        .address_space:  global
        .offset:         24
        .size:           8
        .value_kind:     global_buffer
      - .offset:         32
        .size:           8
        .value_kind:     by_value
      - .actual_access:  read_only
        .address_space:  global
        .offset:         40
        .size:           8
        .value_kind:     global_buffer
      - .actual_access:  read_only
        .address_space:  global
        .offset:         48
        .size:           8
        .value_kind:     global_buffer
      - .offset:         56
        .size:           4
        .value_kind:     by_value
      - .actual_access:  read_only
        .address_space:  global
        .offset:         64
        .size:           8
        .value_kind:     global_buffer
      - .actual_access:  read_only
        .address_space:  global
        .offset:         72
        .size:           8
        .value_kind:     global_buffer
      - .address_space:  global
        .offset:         80
        .size:           8
        .value_kind:     global_buffer
    .group_segment_fixed_size: 0
    .kernarg_segment_align: 8
    .kernarg_segment_size: 88
    .language:       OpenCL C
    .language_version:
      - 2
      - 0
    .max_flat_workgroup_size: 204
    .name:           fft_rtc_back_len1326_factors_17_6_13_wgs_204_tpt_102_halfLds_dp_ip_CI_unitstride_sbrr_C2R_dirReg
    .private_segment_fixed_size: 0
    .sgpr_count:     62
    .sgpr_spill_count: 0
    .symbol:         fft_rtc_back_len1326_factors_17_6_13_wgs_204_tpt_102_halfLds_dp_ip_CI_unitstride_sbrr_C2R_dirReg.kd
    .uniform_work_group_size: 1
    .uses_dynamic_stack: false
    .vgpr_count:     368
    .vgpr_spill_count: 0
    .wavefront_size: 64
amdhsa.target:   amdgcn-amd-amdhsa--gfx950
amdhsa.version:
  - 1
  - 2
...

	.end_amdgpu_metadata
